;; amdgpu-corpus repo=ROCm/rocFFT kind=compiled arch=gfx1100 opt=O3
	.text
	.amdgcn_target "amdgcn-amd-amdhsa--gfx1100"
	.amdhsa_code_object_version 6
	.protected	fft_rtc_fwd_len408_factors_17_3_8_wgs_51_tpt_17_halfLds_dp_op_CI_CI_unitstride_sbrr_C2R_dirReg ; -- Begin function fft_rtc_fwd_len408_factors_17_3_8_wgs_51_tpt_17_halfLds_dp_op_CI_CI_unitstride_sbrr_C2R_dirReg
	.globl	fft_rtc_fwd_len408_factors_17_3_8_wgs_51_tpt_17_halfLds_dp_op_CI_CI_unitstride_sbrr_C2R_dirReg
	.p2align	8
	.type	fft_rtc_fwd_len408_factors_17_3_8_wgs_51_tpt_17_halfLds_dp_op_CI_CI_unitstride_sbrr_C2R_dirReg,@function
fft_rtc_fwd_len408_factors_17_3_8_wgs_51_tpt_17_halfLds_dp_op_CI_CI_unitstride_sbrr_C2R_dirReg: ; @fft_rtc_fwd_len408_factors_17_3_8_wgs_51_tpt_17_halfLds_dp_op_CI_CI_unitstride_sbrr_C2R_dirReg
; %bb.0:
	s_load_b128 s[8:11], s[0:1], 0x0
	v_mul_u32_u24_e32 v1, 0xf10, v0
	s_clause 0x1
	s_load_b128 s[4:7], s[0:1], 0x58
	s_load_b128 s[16:19], s[0:1], 0x18
	v_mov_b32_e32 v5, 0
	v_lshrrev_b32_e32 v6, 16, v1
	v_mov_b32_e32 v1, 0
	v_mov_b32_e32 v2, 0
	s_delay_alu instid0(VALU_DEP_3) | instskip(NEXT) | instid1(VALU_DEP_2)
	v_mad_u64_u32 v[3:4], null, s15, 3, v[6:7]
	v_dual_mov_b32 v4, v5 :: v_dual_mov_b32 v125, v2
	s_delay_alu instid0(VALU_DEP_1) | instskip(NEXT) | instid1(VALU_DEP_3)
	v_dual_mov_b32 v124, v1 :: v_dual_mov_b32 v129, v4
	v_mov_b32_e32 v128, v3
	s_waitcnt lgkmcnt(0)
	v_cmp_lt_u64_e64 s2, s[10:11], 2
	s_delay_alu instid0(VALU_DEP_1)
	s_and_b32 vcc_lo, exec_lo, s2
	s_cbranch_vccnz .LBB0_8
; %bb.1:
	s_load_b64 s[2:3], s[0:1], 0x10
	v_dual_mov_b32 v1, 0 :: v_dual_mov_b32 v8, v4
	v_dual_mov_b32 v2, 0 :: v_dual_mov_b32 v7, v3
	s_add_u32 s12, s18, 8
	s_addc_u32 s13, s19, 0
	s_add_u32 s14, s16, 8
	s_delay_alu instid0(VALU_DEP_1)
	v_dual_mov_b32 v125, v2 :: v_dual_mov_b32 v124, v1
	s_addc_u32 s15, s17, 0
	s_mov_b64 s[22:23], 1
	s_waitcnt lgkmcnt(0)
	s_add_u32 s20, s2, 8
	s_addc_u32 s21, s3, 0
.LBB0_2:                                ; =>This Inner Loop Header: Depth=1
	s_load_b64 s[24:25], s[20:21], 0x0
                                        ; implicit-def: $vgpr128_vgpr129
	s_mov_b32 s2, exec_lo
	s_waitcnt lgkmcnt(0)
	v_or_b32_e32 v6, s25, v8
	s_delay_alu instid0(VALU_DEP_1)
	v_cmpx_ne_u64_e32 0, v[5:6]
	s_xor_b32 s3, exec_lo, s2
	s_cbranch_execz .LBB0_4
; %bb.3:                                ;   in Loop: Header=BB0_2 Depth=1
	v_cvt_f32_u32_e32 v4, s24
	v_cvt_f32_u32_e32 v6, s25
	s_sub_u32 s2, 0, s24
	s_subb_u32 s26, 0, s25
	s_delay_alu instid0(VALU_DEP_1) | instskip(NEXT) | instid1(VALU_DEP_1)
	v_fmac_f32_e32 v4, 0x4f800000, v6
	v_rcp_f32_e32 v4, v4
	s_waitcnt_depctr 0xfff
	v_mul_f32_e32 v4, 0x5f7ffffc, v4
	s_delay_alu instid0(VALU_DEP_1) | instskip(NEXT) | instid1(VALU_DEP_1)
	v_mul_f32_e32 v6, 0x2f800000, v4
	v_trunc_f32_e32 v6, v6
	s_delay_alu instid0(VALU_DEP_1) | instskip(SKIP_1) | instid1(VALU_DEP_2)
	v_fmac_f32_e32 v4, 0xcf800000, v6
	v_cvt_u32_f32_e32 v6, v6
	v_cvt_u32_f32_e32 v4, v4
	s_delay_alu instid0(VALU_DEP_2) | instskip(NEXT) | instid1(VALU_DEP_2)
	v_mul_lo_u32 v9, s2, v6
	v_mul_hi_u32 v10, s2, v4
	v_mul_lo_u32 v11, s26, v4
	s_delay_alu instid0(VALU_DEP_2) | instskip(SKIP_1) | instid1(VALU_DEP_2)
	v_add_nc_u32_e32 v9, v10, v9
	v_mul_lo_u32 v10, s2, v4
	v_add_nc_u32_e32 v9, v9, v11
	s_delay_alu instid0(VALU_DEP_2) | instskip(NEXT) | instid1(VALU_DEP_2)
	v_mul_hi_u32 v11, v4, v10
	v_mul_lo_u32 v12, v4, v9
	v_mul_hi_u32 v13, v4, v9
	v_mul_hi_u32 v14, v6, v10
	v_mul_lo_u32 v10, v6, v10
	v_mul_hi_u32 v15, v6, v9
	v_mul_lo_u32 v9, v6, v9
	v_add_co_u32 v11, vcc_lo, v11, v12
	v_add_co_ci_u32_e32 v12, vcc_lo, 0, v13, vcc_lo
	s_delay_alu instid0(VALU_DEP_2) | instskip(NEXT) | instid1(VALU_DEP_2)
	v_add_co_u32 v10, vcc_lo, v11, v10
	v_add_co_ci_u32_e32 v10, vcc_lo, v12, v14, vcc_lo
	v_add_co_ci_u32_e32 v11, vcc_lo, 0, v15, vcc_lo
	s_delay_alu instid0(VALU_DEP_2) | instskip(NEXT) | instid1(VALU_DEP_2)
	v_add_co_u32 v9, vcc_lo, v10, v9
	v_add_co_ci_u32_e32 v10, vcc_lo, 0, v11, vcc_lo
	s_delay_alu instid0(VALU_DEP_2) | instskip(NEXT) | instid1(VALU_DEP_2)
	v_add_co_u32 v4, vcc_lo, v4, v9
	v_add_co_ci_u32_e32 v6, vcc_lo, v6, v10, vcc_lo
	s_delay_alu instid0(VALU_DEP_2) | instskip(SKIP_1) | instid1(VALU_DEP_3)
	v_mul_hi_u32 v9, s2, v4
	v_mul_lo_u32 v11, s26, v4
	v_mul_lo_u32 v10, s2, v6
	s_delay_alu instid0(VALU_DEP_1) | instskip(SKIP_1) | instid1(VALU_DEP_2)
	v_add_nc_u32_e32 v9, v9, v10
	v_mul_lo_u32 v10, s2, v4
	v_add_nc_u32_e32 v9, v9, v11
	s_delay_alu instid0(VALU_DEP_2) | instskip(NEXT) | instid1(VALU_DEP_2)
	v_mul_hi_u32 v11, v4, v10
	v_mul_lo_u32 v12, v4, v9
	v_mul_hi_u32 v13, v4, v9
	v_mul_hi_u32 v14, v6, v10
	v_mul_lo_u32 v10, v6, v10
	v_mul_hi_u32 v15, v6, v9
	v_mul_lo_u32 v9, v6, v9
	v_add_co_u32 v11, vcc_lo, v11, v12
	v_add_co_ci_u32_e32 v12, vcc_lo, 0, v13, vcc_lo
	s_delay_alu instid0(VALU_DEP_2) | instskip(NEXT) | instid1(VALU_DEP_2)
	v_add_co_u32 v10, vcc_lo, v11, v10
	v_add_co_ci_u32_e32 v10, vcc_lo, v12, v14, vcc_lo
	v_add_co_ci_u32_e32 v11, vcc_lo, 0, v15, vcc_lo
	s_delay_alu instid0(VALU_DEP_2) | instskip(NEXT) | instid1(VALU_DEP_2)
	v_add_co_u32 v9, vcc_lo, v10, v9
	v_add_co_ci_u32_e32 v10, vcc_lo, 0, v11, vcc_lo
	s_delay_alu instid0(VALU_DEP_2) | instskip(NEXT) | instid1(VALU_DEP_2)
	v_add_co_u32 v4, vcc_lo, v4, v9
	v_add_co_ci_u32_e32 v6, vcc_lo, v6, v10, vcc_lo
	s_delay_alu instid0(VALU_DEP_2) | instskip(SKIP_1) | instid1(VALU_DEP_3)
	v_mul_hi_u32 v15, v7, v4
	v_mad_u64_u32 v[11:12], null, v8, v4, 0
	v_mad_u64_u32 v[9:10], null, v7, v6, 0
	;; [unrolled: 1-line block ×3, first 2 shown]
	s_delay_alu instid0(VALU_DEP_2) | instskip(NEXT) | instid1(VALU_DEP_3)
	v_add_co_u32 v4, vcc_lo, v15, v9
	v_add_co_ci_u32_e32 v6, vcc_lo, 0, v10, vcc_lo
	s_delay_alu instid0(VALU_DEP_2) | instskip(NEXT) | instid1(VALU_DEP_2)
	v_add_co_u32 v4, vcc_lo, v4, v11
	v_add_co_ci_u32_e32 v4, vcc_lo, v6, v12, vcc_lo
	v_add_co_ci_u32_e32 v6, vcc_lo, 0, v14, vcc_lo
	s_delay_alu instid0(VALU_DEP_2) | instskip(NEXT) | instid1(VALU_DEP_2)
	v_add_co_u32 v4, vcc_lo, v4, v13
	v_add_co_ci_u32_e32 v6, vcc_lo, 0, v6, vcc_lo
	s_delay_alu instid0(VALU_DEP_2) | instskip(SKIP_1) | instid1(VALU_DEP_3)
	v_mul_lo_u32 v11, s25, v4
	v_mad_u64_u32 v[9:10], null, s24, v4, 0
	v_mul_lo_u32 v12, s24, v6
	s_delay_alu instid0(VALU_DEP_2) | instskip(NEXT) | instid1(VALU_DEP_2)
	v_sub_co_u32 v9, vcc_lo, v7, v9
	v_add3_u32 v10, v10, v12, v11
	s_delay_alu instid0(VALU_DEP_1) | instskip(NEXT) | instid1(VALU_DEP_1)
	v_sub_nc_u32_e32 v11, v8, v10
	v_subrev_co_ci_u32_e64 v11, s2, s25, v11, vcc_lo
	v_add_co_u32 v12, s2, v4, 2
	s_delay_alu instid0(VALU_DEP_1) | instskip(SKIP_3) | instid1(VALU_DEP_3)
	v_add_co_ci_u32_e64 v13, s2, 0, v6, s2
	v_sub_co_u32 v14, s2, v9, s24
	v_sub_co_ci_u32_e32 v10, vcc_lo, v8, v10, vcc_lo
	v_subrev_co_ci_u32_e64 v11, s2, 0, v11, s2
	v_cmp_le_u32_e32 vcc_lo, s24, v14
	s_delay_alu instid0(VALU_DEP_3) | instskip(SKIP_1) | instid1(VALU_DEP_4)
	v_cmp_eq_u32_e64 s2, s25, v10
	v_cndmask_b32_e64 v14, 0, -1, vcc_lo
	v_cmp_le_u32_e32 vcc_lo, s25, v11
	v_cndmask_b32_e64 v15, 0, -1, vcc_lo
	v_cmp_le_u32_e32 vcc_lo, s24, v9
	;; [unrolled: 2-line block ×3, first 2 shown]
	v_cndmask_b32_e64 v16, 0, -1, vcc_lo
	v_cmp_eq_u32_e32 vcc_lo, s25, v11
	s_delay_alu instid0(VALU_DEP_2) | instskip(SKIP_3) | instid1(VALU_DEP_3)
	v_cndmask_b32_e64 v9, v16, v9, s2
	v_cndmask_b32_e32 v11, v15, v14, vcc_lo
	v_add_co_u32 v14, vcc_lo, v4, 1
	v_add_co_ci_u32_e32 v15, vcc_lo, 0, v6, vcc_lo
	v_cmp_ne_u32_e32 vcc_lo, 0, v11
	s_delay_alu instid0(VALU_DEP_2) | instskip(SKIP_1) | instid1(VALU_DEP_2)
	v_dual_cndmask_b32 v10, v15, v13 :: v_dual_cndmask_b32 v11, v14, v12
	v_cmp_ne_u32_e32 vcc_lo, 0, v9
	v_dual_cndmask_b32 v129, v6, v10 :: v_dual_cndmask_b32 v128, v4, v11
.LBB0_4:                                ;   in Loop: Header=BB0_2 Depth=1
	s_and_not1_saveexec_b32 s2, s3
	s_cbranch_execz .LBB0_6
; %bb.5:                                ;   in Loop: Header=BB0_2 Depth=1
	v_cvt_f32_u32_e32 v4, s24
	s_sub_i32 s3, 0, s24
	v_mov_b32_e32 v129, v5
	s_delay_alu instid0(VALU_DEP_2) | instskip(SKIP_2) | instid1(VALU_DEP_1)
	v_rcp_iflag_f32_e32 v4, v4
	s_waitcnt_depctr 0xfff
	v_mul_f32_e32 v4, 0x4f7ffffe, v4
	v_cvt_u32_f32_e32 v4, v4
	s_delay_alu instid0(VALU_DEP_1) | instskip(NEXT) | instid1(VALU_DEP_1)
	v_mul_lo_u32 v6, s3, v4
	v_mul_hi_u32 v6, v4, v6
	s_delay_alu instid0(VALU_DEP_1) | instskip(NEXT) | instid1(VALU_DEP_1)
	v_add_nc_u32_e32 v4, v4, v6
	v_mul_hi_u32 v4, v7, v4
	s_delay_alu instid0(VALU_DEP_1) | instskip(NEXT) | instid1(VALU_DEP_1)
	v_mul_lo_u32 v6, v4, s24
	v_sub_nc_u32_e32 v6, v7, v6
	s_delay_alu instid0(VALU_DEP_1) | instskip(SKIP_1) | instid1(VALU_DEP_2)
	v_subrev_nc_u32_e32 v10, s24, v6
	v_cmp_le_u32_e32 vcc_lo, s24, v6
	v_dual_cndmask_b32 v6, v6, v10 :: v_dual_add_nc_u32 v9, 1, v4
	s_delay_alu instid0(VALU_DEP_1) | instskip(NEXT) | instid1(VALU_DEP_2)
	v_cndmask_b32_e32 v4, v4, v9, vcc_lo
	v_cmp_le_u32_e32 vcc_lo, s24, v6
	s_delay_alu instid0(VALU_DEP_2) | instskip(NEXT) | instid1(VALU_DEP_1)
	v_add_nc_u32_e32 v9, 1, v4
	v_cndmask_b32_e32 v128, v4, v9, vcc_lo
.LBB0_6:                                ;   in Loop: Header=BB0_2 Depth=1
	s_or_b32 exec_lo, exec_lo, s2
	s_delay_alu instid0(VALU_DEP_1) | instskip(NEXT) | instid1(VALU_DEP_2)
	v_mul_lo_u32 v4, v129, s24
	v_mul_lo_u32 v6, v128, s25
	s_load_b64 s[2:3], s[14:15], 0x0
	v_mad_u64_u32 v[9:10], null, v128, s24, 0
	s_load_b64 s[24:25], s[12:13], 0x0
	s_add_u32 s22, s22, 1
	s_addc_u32 s23, s23, 0
	s_add_u32 s12, s12, 8
	s_addc_u32 s13, s13, 0
	s_add_u32 s14, s14, 8
	s_delay_alu instid0(VALU_DEP_1) | instskip(SKIP_3) | instid1(VALU_DEP_2)
	v_add3_u32 v4, v10, v6, v4
	v_sub_co_u32 v10, vcc_lo, v7, v9
	s_addc_u32 s15, s15, 0
	s_add_u32 s20, s20, 8
	v_sub_co_ci_u32_e32 v4, vcc_lo, v8, v4, vcc_lo
	s_addc_u32 s21, s21, 0
	s_waitcnt lgkmcnt(0)
	s_delay_alu instid0(VALU_DEP_1)
	v_mul_lo_u32 v11, s2, v4
	v_mul_lo_u32 v12, s3, v10
	v_mad_u64_u32 v[6:7], null, s2, v10, v[1:2]
	v_mul_lo_u32 v4, s24, v4
	v_mul_lo_u32 v13, s25, v10
	v_mad_u64_u32 v[8:9], null, s24, v10, v[124:125]
	v_cmp_ge_u64_e64 s2, s[22:23], s[10:11]
	v_add3_u32 v2, v12, v7, v11
	s_delay_alu instid0(VALU_DEP_3) | instskip(NEXT) | instid1(VALU_DEP_4)
	v_dual_mov_b32 v1, v6 :: v_dual_mov_b32 v124, v8
	v_add3_u32 v125, v13, v9, v4
	s_delay_alu instid0(VALU_DEP_4)
	s_and_b32 vcc_lo, exec_lo, s2
	s_cbranch_vccnz .LBB0_8
; %bb.7:                                ;   in Loop: Header=BB0_2 Depth=1
	v_dual_mov_b32 v7, v128 :: v_dual_mov_b32 v8, v129
	s_branch .LBB0_2
.LBB0_8:
	s_load_b64 s[0:1], s[0:1], 0x28
	v_mul_hi_u32 v4, 0xaaaaaaab, v3
	s_lshl_b64 s[10:11], s[10:11], 3
                                        ; implicit-def: $vgpr126
	s_delay_alu instid0(SALU_CYCLE_1) | instskip(SKIP_1) | instid1(VALU_DEP_1)
	s_add_u32 s2, s18, s10
	s_addc_u32 s3, s19, s11
	v_lshrrev_b32_e32 v4, 1, v4
	s_delay_alu instid0(VALU_DEP_1) | instskip(SKIP_1) | instid1(VALU_DEP_2)
	v_lshl_add_u32 v5, v4, 1, v4
	v_mul_hi_u32 v4, 0xf0f0f10, v0
	v_sub_nc_u32_e32 v3, v3, v5
	s_waitcnt lgkmcnt(0)
	v_cmp_gt_u64_e32 vcc_lo, s[0:1], v[128:129]
	v_cmp_le_u64_e64 s0, s[0:1], v[128:129]
	s_delay_alu instid0(VALU_DEP_1) | instskip(NEXT) | instid1(SALU_CYCLE_1)
	s_and_saveexec_b32 s1, s0
	s_xor_b32 s0, exec_lo, s1
; %bb.9:
	s_delay_alu instid0(VALU_DEP_4) | instskip(NEXT) | instid1(VALU_DEP_1)
	v_mul_u32_u24_e32 v1, 17, v4
                                        ; implicit-def: $vgpr4
	v_sub_nc_u32_e32 v126, v0, v1
                                        ; implicit-def: $vgpr0
                                        ; implicit-def: $vgpr1_vgpr2
; %bb.10:
	s_or_saveexec_b32 s1, s0
	s_load_b64 s[2:3], s[2:3], 0x0
	v_mul_u32_u24_e32 v3, 0x199, v3
	s_delay_alu instid0(VALU_DEP_1)
	v_lshlrev_b32_e32 v178, 4, v3
	s_xor_b32 exec_lo, exec_lo, s1
	s_cbranch_execz .LBB0_14
; %bb.11:
	s_add_u32 s10, s16, s10
	s_addc_u32 s11, s17, s11
	v_lshlrev_b64 v[1:2], 4, v[1:2]
	s_load_b64 s[10:11], s[10:11], 0x0
	s_waitcnt lgkmcnt(0)
	v_mul_lo_u32 v7, s11, v128
	v_mul_lo_u32 v8, s10, v129
	v_mad_u64_u32 v[5:6], null, s10, v128, 0
	s_delay_alu instid0(VALU_DEP_1) | instskip(SKIP_1) | instid1(VALU_DEP_2)
	v_add3_u32 v6, v6, v8, v7
	v_mul_u32_u24_e32 v7, 17, v4
	v_lshlrev_b64 v[4:5], 4, v[5:6]
	s_delay_alu instid0(VALU_DEP_2) | instskip(NEXT) | instid1(VALU_DEP_1)
	v_sub_nc_u32_e32 v126, v0, v7
	v_lshlrev_b32_e32 v100, 4, v126
	s_delay_alu instid0(VALU_DEP_3) | instskip(NEXT) | instid1(VALU_DEP_1)
	v_add_co_u32 v0, s0, s4, v4
	v_add_co_ci_u32_e64 v4, s0, s5, v5, s0
	s_delay_alu instid0(VALU_DEP_2) | instskip(NEXT) | instid1(VALU_DEP_1)
	v_add_co_u32 v0, s0, v0, v1
	v_add_co_ci_u32_e64 v1, s0, v4, v2, s0
	v_add3_u32 v2, 0, v178, v100
	s_delay_alu instid0(VALU_DEP_3) | instskip(NEXT) | instid1(VALU_DEP_1)
	v_add_co_u32 v64, s0, v0, v100
	v_add_co_ci_u32_e64 v65, s0, 0, v1, s0
	s_clause 0xb
	global_load_b128 v[4:7], v[64:65], off
	global_load_b128 v[8:11], v[64:65], off offset:272
	global_load_b128 v[12:15], v[64:65], off offset:544
	;; [unrolled: 1-line block ×11, first 2 shown]
	v_add_co_u32 v96, s0, 0x1000, v64
	s_delay_alu instid0(VALU_DEP_1)
	v_add_co_ci_u32_e64 v97, s0, 0, v65, s0
	s_clause 0xb
	global_load_b128 v[52:55], v[64:65], off offset:3264
	global_load_b128 v[56:59], v[64:65], off offset:3536
	;; [unrolled: 1-line block ×12, first 2 shown]
	v_cmp_eq_u32_e64 s0, 16, v126
	s_waitcnt vmcnt(23)
	ds_store_b128 v2, v[4:7]
	s_waitcnt vmcnt(22)
	ds_store_b128 v2, v[8:11] offset:272
	s_waitcnt vmcnt(21)
	ds_store_b128 v2, v[12:15] offset:544
	;; [unrolled: 2-line block ×23, first 2 shown]
	s_and_saveexec_b32 s4, s0
	s_cbranch_execz .LBB0_13
; %bb.12:
	v_add_co_u32 v0, s0, 0x1000, v0
	s_delay_alu instid0(VALU_DEP_1)
	v_add_co_ci_u32_e64 v1, s0, 0, v1, s0
	v_mov_b32_e32 v126, 16
	global_load_b128 v[4:7], v[0:1], off offset:2432
	s_waitcnt vmcnt(0)
	ds_store_b128 v2, v[4:7] offset:6272
.LBB0_13:
	s_or_b32 exec_lo, exec_lo, s4
.LBB0_14:
	s_delay_alu instid0(SALU_CYCLE_1)
	s_or_b32 exec_lo, exec_lo, s1
	v_lshl_add_u32 v232, v3, 4, 0
	v_lshlrev_b32_e32 v0, 4, v126
	s_waitcnt lgkmcnt(0)
	s_barrier
	buffer_gl0_inv
	s_add_u32 s1, s8, 0x1870
	v_add_nc_u32_e32 v255, v232, v0
	v_sub_nc_u32_e32 v10, v232, v0
	s_addc_u32 s4, s9, 0
	s_mov_b32 s5, exec_lo
	ds_load_b64 v[6:7], v255
	ds_load_b64 v[8:9], v10 offset:6528
                                        ; implicit-def: $vgpr4_vgpr5
	s_waitcnt lgkmcnt(0)
	v_add_f64 v[0:1], v[6:7], v[8:9]
	v_add_f64 v[2:3], v[6:7], -v[8:9]
	v_cmpx_ne_u32_e32 0, v126
	s_xor_b32 s5, exec_lo, s5
	s_cbranch_execz .LBB0_16
; %bb.15:
	v_mov_b32_e32 v127, 0
	v_add_f64 v[13:14], v[6:7], v[8:9]
	v_add_f64 v[15:16], v[6:7], -v[8:9]
	s_delay_alu instid0(VALU_DEP_3) | instskip(NEXT) | instid1(VALU_DEP_1)
	v_lshlrev_b64 v[0:1], 4, v[126:127]
	v_add_co_u32 v0, s0, s1, v0
	s_delay_alu instid0(VALU_DEP_1)
	v_add_co_ci_u32_e64 v1, s0, s4, v1, s0
	global_load_b128 v[2:5], v[0:1], off
	ds_load_b64 v[0:1], v10 offset:6536
	ds_load_b64 v[11:12], v255 offset:8
	s_waitcnt lgkmcnt(0)
	v_add_f64 v[6:7], v[0:1], v[11:12]
	v_add_f64 v[0:1], v[11:12], -v[0:1]
	s_waitcnt vmcnt(0)
	v_fma_f64 v[8:9], v[15:16], v[4:5], v[13:14]
	v_fma_f64 v[11:12], -v[15:16], v[4:5], v[13:14]
	s_delay_alu instid0(VALU_DEP_3) | instskip(SKIP_1) | instid1(VALU_DEP_4)
	v_fma_f64 v[13:14], v[6:7], v[4:5], -v[0:1]
	v_fma_f64 v[4:5], v[6:7], v[4:5], v[0:1]
	v_fma_f64 v[0:1], -v[6:7], v[2:3], v[8:9]
	s_delay_alu instid0(VALU_DEP_4) | instskip(NEXT) | instid1(VALU_DEP_4)
	v_fma_f64 v[6:7], v[6:7], v[2:3], v[11:12]
	v_fma_f64 v[8:9], v[15:16], v[2:3], v[13:14]
	s_delay_alu instid0(VALU_DEP_4)
	v_fma_f64 v[2:3], v[15:16], v[2:3], v[4:5]
	v_dual_mov_b32 v4, v126 :: v_dual_mov_b32 v5, v127
	ds_store_b128 v10, v[6:9] offset:6528
.LBB0_16:
	s_and_not1_saveexec_b32 s0, s5
	s_cbranch_execz .LBB0_18
; %bb.17:
	ds_load_b128 v[4:7], v232 offset:3264
	s_waitcnt lgkmcnt(0)
	v_add_f64 v[11:12], v[4:5], v[4:5]
	v_mul_f64 v[13:14], v[6:7], -2.0
	v_mov_b32_e32 v4, 0
	v_mov_b32_e32 v5, 0
	ds_store_b128 v232, v[11:14] offset:3264
.LBB0_18:
	s_or_b32 exec_lo, exec_lo, s0
	v_lshlrev_b64 v[4:5], 4, v[4:5]
	s_mov_b32 s12, 0x5d8e7cdc
	s_mov_b32 s34, 0x2a9d6da3
	;; [unrolled: 1-line block ×5, first 2 shown]
	v_add_co_u32 v4, s0, s1, v4
	s_delay_alu instid0(VALU_DEP_1)
	v_add_co_ci_u32_e64 v5, s0, s4, v5, s0
	s_mov_b32 s38, 0x6c9a05f6
	s_mov_b32 s30, 0x4363dd80
	;; [unrolled: 1-line block ×3, first 2 shown]
	s_clause 0x1
	global_load_b128 v[6:9], v[4:5], off offset:272
	global_load_b128 v[11:14], v[4:5], off offset:544
	ds_store_b128 v255, v[0:3]
	ds_load_b128 v[0:3], v255 offset:272
	ds_load_b128 v[15:18], v10 offset:6256
	global_load_b128 v[19:22], v[4:5], off offset:816
	s_mov_b32 s13, 0xbfd71e95
	s_mov_b32 s35, 0xbfe58eea
	;; [unrolled: 1-line block ×18, first 2 shown]
	s_waitcnt lgkmcnt(0)
	v_add_f64 v[23:24], v[0:1], v[15:16]
	v_add_f64 v[25:26], v[17:18], v[2:3]
	v_add_f64 v[27:28], v[0:1], -v[15:16]
	v_add_f64 v[0:1], v[2:3], -v[17:18]
	s_mov_b32 s23, 0x3fdc86fa
	s_mov_b32 s21, 0x3fb79ee6
	;; [unrolled: 1-line block ×22, first 2 shown]
	s_mov_b32 s1, exec_lo
	s_waitcnt vmcnt(2)
	s_delay_alu instid0(VALU_DEP_2) | instskip(NEXT) | instid1(VALU_DEP_2)
	v_fma_f64 v[2:3], v[27:28], v[8:9], v[23:24]
	v_fma_f64 v[15:16], v[25:26], v[8:9], v[0:1]
	v_fma_f64 v[17:18], -v[27:28], v[8:9], v[23:24]
	v_fma_f64 v[8:9], v[25:26], v[8:9], -v[0:1]
	s_delay_alu instid0(VALU_DEP_4) | instskip(NEXT) | instid1(VALU_DEP_4)
	v_fma_f64 v[0:1], -v[25:26], v[6:7], v[2:3]
	v_fma_f64 v[2:3], v[27:28], v[6:7], v[15:16]
	s_delay_alu instid0(VALU_DEP_4) | instskip(NEXT) | instid1(VALU_DEP_4)
	v_fma_f64 v[15:16], v[25:26], v[6:7], v[17:18]
	v_fma_f64 v[17:18], v[27:28], v[6:7], v[8:9]
	ds_store_b128 v255, v[0:3] offset:272
	ds_store_b128 v10, v[15:18] offset:6256
	ds_load_b128 v[0:3], v255 offset:544
	ds_load_b128 v[6:9], v10 offset:5984
	global_load_b128 v[15:18], v[4:5], off offset:1088
	s_waitcnt lgkmcnt(0)
	v_add_f64 v[23:24], v[0:1], v[6:7]
	v_add_f64 v[25:26], v[8:9], v[2:3]
	v_add_f64 v[27:28], v[0:1], -v[6:7]
	v_add_f64 v[0:1], v[2:3], -v[8:9]
	s_waitcnt vmcnt(2)
	s_delay_alu instid0(VALU_DEP_2) | instskip(NEXT) | instid1(VALU_DEP_2)
	v_fma_f64 v[2:3], v[27:28], v[13:14], v[23:24]
	v_fma_f64 v[6:7], v[25:26], v[13:14], v[0:1]
	v_fma_f64 v[8:9], -v[27:28], v[13:14], v[23:24]
	v_fma_f64 v[13:14], v[25:26], v[13:14], -v[0:1]
	s_delay_alu instid0(VALU_DEP_4) | instskip(NEXT) | instid1(VALU_DEP_4)
	v_fma_f64 v[0:1], -v[25:26], v[11:12], v[2:3]
	v_fma_f64 v[2:3], v[27:28], v[11:12], v[6:7]
	s_delay_alu instid0(VALU_DEP_4) | instskip(NEXT) | instid1(VALU_DEP_4)
	v_fma_f64 v[6:7], v[25:26], v[11:12], v[8:9]
	v_fma_f64 v[8:9], v[27:28], v[11:12], v[13:14]
	ds_store_b128 v255, v[0:3] offset:544
	ds_store_b128 v10, v[6:9] offset:5984
	ds_load_b128 v[0:3], v255 offset:816
	ds_load_b128 v[6:9], v10 offset:5712
	global_load_b128 v[11:14], v[4:5], off offset:1360
	s_waitcnt lgkmcnt(0)
	v_add_f64 v[23:24], v[0:1], v[6:7]
	v_add_f64 v[25:26], v[8:9], v[2:3]
	v_add_f64 v[27:28], v[0:1], -v[6:7]
	v_add_f64 v[0:1], v[2:3], -v[8:9]
	;; [unrolled: 22-line block ×7, first 2 shown]
	s_waitcnt vmcnt(2)
	s_delay_alu instid0(VALU_DEP_2) | instskip(NEXT) | instid1(VALU_DEP_2)
	v_fma_f64 v[2:3], v[27:28], v[13:14], v[23:24]
	v_fma_f64 v[6:7], v[25:26], v[13:14], v[0:1]
	v_fma_f64 v[8:9], -v[27:28], v[13:14], v[23:24]
	v_fma_f64 v[13:14], v[25:26], v[13:14], -v[0:1]
	s_delay_alu instid0(VALU_DEP_4) | instskip(NEXT) | instid1(VALU_DEP_4)
	v_fma_f64 v[0:1], -v[25:26], v[11:12], v[2:3]
	v_fma_f64 v[2:3], v[27:28], v[11:12], v[6:7]
	s_delay_alu instid0(VALU_DEP_4) | instskip(NEXT) | instid1(VALU_DEP_4)
	v_fma_f64 v[6:7], v[25:26], v[11:12], v[8:9]
	v_fma_f64 v[8:9], v[27:28], v[11:12], v[13:14]
	v_xor_b32_e32 v11, 0xff, v126
	ds_store_b128 v255, v[0:3] offset:2176
	ds_store_b128 v10, v[6:9] offset:4352
	v_lshl_add_u32 v25, v11, 4, v232
	ds_load_b128 v[0:3], v255 offset:2448
	ds_load_b128 v[6:9], v25
	global_load_b128 v[11:14], v[4:5], off offset:2992
	s_waitcnt lgkmcnt(0)
	v_add_f64 v[4:5], v[0:1], v[6:7]
	v_add_f64 v[23:24], v[8:9], v[2:3]
	v_add_f64 v[6:7], v[0:1], -v[6:7]
	v_add_f64 v[0:1], v[2:3], -v[8:9]
	s_waitcnt vmcnt(2)
	s_delay_alu instid0(VALU_DEP_2) | instskip(NEXT) | instid1(VALU_DEP_2)
	v_fma_f64 v[2:3], v[6:7], v[21:22], v[4:5]
	v_fma_f64 v[8:9], v[23:24], v[21:22], v[0:1]
	v_fma_f64 v[4:5], -v[6:7], v[21:22], v[4:5]
	v_fma_f64 v[21:22], v[23:24], v[21:22], -v[0:1]
	s_delay_alu instid0(VALU_DEP_4) | instskip(NEXT) | instid1(VALU_DEP_4)
	v_fma_f64 v[0:1], -v[23:24], v[19:20], v[2:3]
	v_fma_f64 v[2:3], v[6:7], v[19:20], v[8:9]
	s_delay_alu instid0(VALU_DEP_4) | instskip(NEXT) | instid1(VALU_DEP_4)
	v_fma_f64 v[4:5], v[23:24], v[19:20], v[4:5]
	v_fma_f64 v[6:7], v[6:7], v[19:20], v[21:22]
	ds_store_b128 v255, v[0:3] offset:2448
	ds_store_b128 v25, v[4:7]
	ds_load_b128 v[0:3], v255 offset:2720
	ds_load_b128 v[4:7], v10 offset:3808
	s_waitcnt lgkmcnt(0)
	v_add_f64 v[8:9], v[0:1], v[4:5]
	v_add_f64 v[19:20], v[6:7], v[2:3]
	v_add_f64 v[21:22], v[0:1], -v[4:5]
	v_add_f64 v[0:1], v[2:3], -v[6:7]
	s_waitcnt vmcnt(1)
	s_delay_alu instid0(VALU_DEP_2) | instskip(NEXT) | instid1(VALU_DEP_2)
	v_fma_f64 v[2:3], v[21:22], v[17:18], v[8:9]
	v_fma_f64 v[4:5], v[19:20], v[17:18], v[0:1]
	v_fma_f64 v[6:7], -v[21:22], v[17:18], v[8:9]
	v_fma_f64 v[8:9], v[19:20], v[17:18], -v[0:1]
	s_delay_alu instid0(VALU_DEP_4) | instskip(NEXT) | instid1(VALU_DEP_4)
	v_fma_f64 v[0:1], -v[19:20], v[15:16], v[2:3]
	v_fma_f64 v[2:3], v[21:22], v[15:16], v[4:5]
	s_delay_alu instid0(VALU_DEP_4) | instskip(NEXT) | instid1(VALU_DEP_4)
	v_fma_f64 v[4:5], v[19:20], v[15:16], v[6:7]
	v_fma_f64 v[6:7], v[21:22], v[15:16], v[8:9]
	ds_store_b128 v255, v[0:3] offset:2720
	ds_store_b128 v10, v[4:7] offset:3808
	ds_load_b128 v[0:3], v255 offset:2992
	ds_load_b128 v[4:7], v10 offset:3536
	s_waitcnt lgkmcnt(0)
	v_add_f64 v[8:9], v[0:1], v[4:5]
	v_add_f64 v[15:16], v[6:7], v[2:3]
	v_add_f64 v[17:18], v[0:1], -v[4:5]
	v_add_f64 v[0:1], v[2:3], -v[6:7]
	s_waitcnt vmcnt(0)
	s_delay_alu instid0(VALU_DEP_2) | instskip(NEXT) | instid1(VALU_DEP_2)
	v_fma_f64 v[2:3], v[17:18], v[13:14], v[8:9]
	v_fma_f64 v[4:5], v[15:16], v[13:14], v[0:1]
	v_fma_f64 v[6:7], -v[17:18], v[13:14], v[8:9]
	v_fma_f64 v[8:9], v[15:16], v[13:14], -v[0:1]
	s_delay_alu instid0(VALU_DEP_4) | instskip(NEXT) | instid1(VALU_DEP_4)
	v_fma_f64 v[0:1], -v[15:16], v[11:12], v[2:3]
	v_fma_f64 v[2:3], v[17:18], v[11:12], v[4:5]
	s_delay_alu instid0(VALU_DEP_4) | instskip(NEXT) | instid1(VALU_DEP_4)
	v_fma_f64 v[4:5], v[15:16], v[11:12], v[6:7]
	v_fma_f64 v[6:7], v[17:18], v[11:12], v[8:9]
	v_lshl_add_u32 v8, v126, 4, 0
	ds_store_b128 v255, v[0:3] offset:2992
	ds_store_b128 v10, v[4:7] offset:3536
	v_add_nc_u32_e32 v127, v8, v178
	s_waitcnt lgkmcnt(0)
	s_barrier
	buffer_gl0_inv
	s_barrier
	buffer_gl0_inv
	ds_load_b128 v[72:75], v127 offset:384
	ds_load_b128 v[68:71], v255
	ds_load_b128 v[0:3], v127 offset:272
	ds_load_b128 v[4:7], v127 offset:656
	;; [unrolled: 1-line block ×4, first 2 shown]
	s_waitcnt lgkmcnt(4)
	v_add_f64 v[16:17], v[68:69], v[72:73]
	v_add_f64 v[18:19], v[70:71], v[74:75]
	s_waitcnt lgkmcnt(1)
	s_delay_alu instid0(VALU_DEP_2) | instskip(NEXT) | instid1(VALU_DEP_2)
	v_add_f64 v[24:25], v[16:17], v[12:13]
	v_add_f64 v[26:27], v[18:19], v[14:15]
	ds_load_b128 v[16:19], v127 offset:1152
	ds_load_b128 v[20:23], v127 offset:1424
	s_waitcnt lgkmcnt(1)
	v_add_f64 v[32:33], v[24:25], v[16:17]
	v_add_f64 v[34:35], v[26:27], v[18:19]
	ds_load_b128 v[24:27], v127 offset:1536
	ds_load_b128 v[28:31], v127 offset:1808
	s_waitcnt lgkmcnt(1)
	;; [unrolled: 5-line block ×7, first 2 shown]
	v_add_f64 v[80:81], v[52:53], v[76:77]
	v_add_f64 v[82:83], v[54:55], v[78:79]
	v_add_f64 v[92:93], v[52:53], -v[76:77]
	v_add_f64 v[94:95], v[54:55], -v[78:79]
	v_add_f64 v[88:89], v[84:85], v[76:77]
	v_add_f64 v[90:91], v[86:87], v[78:79]
	ds_load_b128 v[76:79], v127 offset:3840
	ds_load_b128 v[52:55], v127 offset:4112
	s_waitcnt lgkmcnt(1)
	v_add_f64 v[84:85], v[44:45], v[76:77]
	v_add_f64 v[86:87], v[46:47], v[78:79]
	v_add_f64 v[100:101], v[44:45], -v[76:77]
	v_add_f64 v[102:103], v[46:47], -v[78:79]
	v_mul_f64 v[227:228], v[94:95], s[50:51]
	v_add_f64 v[96:97], v[88:89], v[76:77]
	v_add_f64 v[98:99], v[90:91], v[78:79]
	ds_load_b128 v[76:79], v127 offset:4224
	ds_load_b128 v[44:47], v127 offset:4496
	s_waitcnt lgkmcnt(1)
	v_add_f64 v[88:89], v[40:41], v[76:77]
	v_add_f64 v[90:91], v[42:43], v[78:79]
	v_add_f64 v[108:109], v[40:41], -v[76:77]
	v_add_f64 v[110:111], v[42:43], -v[78:79]
	v_mul_f64 v[223:224], v[102:103], s[46:47]
	v_mul_f64 v[225:226], v[100:101], s[46:47]
	v_add_f64 v[104:105], v[96:97], v[76:77]
	v_add_f64 v[106:107], v[98:99], v[78:79]
	ds_load_b128 v[76:79], v127 offset:4608
	ds_load_b128 v[40:43], v127 offset:4880
	s_waitcnt lgkmcnt(1)
	v_add_f64 v[96:97], v[32:33], v[76:77]
	v_add_f64 v[98:99], v[34:35], v[78:79]
	v_add_f64 v[116:117], v[32:33], -v[76:77]
	v_add_f64 v[122:123], v[34:35], -v[78:79]
	v_add_f64 v[112:113], v[104:105], v[76:77]
	v_add_f64 v[114:115], v[106:107], v[78:79]
	ds_load_b128 v[76:79], v127 offset:4992
	ds_load_b128 v[32:35], v127 offset:5264
	s_waitcnt lgkmcnt(1)
	v_add_f64 v[104:105], v[24:25], v[76:77]
	v_add_f64 v[106:107], v[26:27], v[78:79]
	v_add_f64 v[130:131], v[24:25], -v[76:77]
	v_add_f64 v[132:133], v[26:27], -v[78:79]
	;; [unrolled: 9-line block ×4, first 2 shown]
	v_add_f64 v[142:143], v[142:143], v[76:77]
	v_add_f64 v[144:145], v[144:145], v[78:79]
	ds_load_b128 v[76:79], v127 offset:6144
	ds_load_b128 v[12:15], v127 offset:6416
	s_waitcnt lgkmcnt(0)
	s_barrier
	buffer_gl0_inv
	v_add_f64 v[146:147], v[74:75], -v[78:79]
	v_add_f64 v[148:149], v[72:73], v[76:77]
	v_add_f64 v[150:151], v[74:75], v[78:79]
	v_add_f64 v[152:153], v[72:73], -v[76:77]
	v_add_f64 v[72:73], v[142:143], v[76:77]
	v_add_f64 v[74:75], v[144:145], v[78:79]
	v_mul_f64 v[76:77], v[146:147], s[12:13]
	v_mul_f64 v[78:79], v[146:147], s[34:35]
	;; [unrolled: 1-line block ×11, first 2 shown]
	v_fma_f64 v[160:161], v[148:149], s[28:29], -v[76:77]
	v_fma_f64 v[76:77], v[148:149], s[28:29], v[76:77]
	v_fma_f64 v[162:163], v[148:149], s[24:25], -v[78:79]
	v_fma_f64 v[78:79], v[148:149], s[24:25], v[78:79]
	;; [unrolled: 2-line block ×8, first 2 shown]
	v_mul_f64 v[142:143], v[152:153], s[12:13]
	v_mul_f64 v[144:145], v[152:153], s[34:35]
	;; [unrolled: 1-line block ×5, first 2 shown]
	v_fma_f64 v[207:208], v[150:151], s[16:17], v[185:186]
	v_fma_f64 v[209:210], v[150:151], s[14:15], v[187:188]
	;; [unrolled: 1-line block ×3, first 2 shown]
	v_fma_f64 v[185:186], v[150:151], s[16:17], -v[185:186]
	v_fma_f64 v[187:188], v[150:151], s[14:15], -v[187:188]
	;; [unrolled: 1-line block ×3, first 2 shown]
	v_add_f64 v[164:165], v[68:69], v[164:165]
	v_add_f64 v[166:167], v[68:69], v[166:167]
	;; [unrolled: 1-line block ×8, first 2 shown]
	v_fma_f64 v[191:192], v[150:151], s[28:29], v[142:143]
	v_fma_f64 v[193:194], v[150:151], s[28:29], -v[142:143]
	v_fma_f64 v[195:196], v[150:151], s[24:25], v[144:145]
	v_fma_f64 v[197:198], v[150:151], s[24:25], -v[144:145]
	;; [unrolled: 2-line block ×5, first 2 shown]
	v_add_f64 v[142:143], v[68:69], v[160:161]
	v_add_f64 v[148:149], v[68:69], v[76:77]
	;; [unrolled: 1-line block ×7, first 2 shown]
	v_mul_f64 v[181:182], v[116:117], s[40:41]
	v_mul_f64 v[183:184], v[110:111], s[44:45]
	;; [unrolled: 1-line block ×3, first 2 shown]
	v_add_f64 v[144:145], v[70:71], v[191:192]
	v_add_f64 v[146:147], v[70:71], v[193:194]
	;; [unrolled: 1-line block ×15, first 2 shown]
	v_mul_f64 v[68:69], v[140:141], s[42:43]
	v_add_f64 v[213:214], v[70:71], v[213:214]
	v_add_f64 v[221:222], v[70:71], v[150:151]
	v_mul_f64 v[150:151], v[138:139], s[42:43]
	v_mul_f64 v[154:155], v[134:135], s[38:39]
	;; [unrolled: 1-line block ×5, first 2 shown]
	v_fma_f64 v[70:71], v[118:119], s[20:21], -v[68:69]
	v_fma_f64 v[68:69], v[118:119], s[20:21], v[68:69]
	s_delay_alu instid0(VALU_DEP_2) | instskip(SKIP_1) | instid1(VALU_DEP_3)
	v_add_f64 v[70:71], v[70:71], v[76:77]
	v_fma_f64 v[76:77], v[120:121], s[20:21], v[150:151]
	v_add_f64 v[68:69], v[68:69], v[160:161]
	v_fma_f64 v[150:151], v[120:121], s[20:21], -v[150:151]
	s_delay_alu instid0(VALU_DEP_3) | instskip(SKIP_1) | instid1(VALU_DEP_3)
	v_add_f64 v[76:77], v[76:77], v[152:153]
	v_mul_f64 v[152:153], v[136:137], s[38:39]
	v_add_f64 v[150:151], v[150:151], v[162:163]
	s_delay_alu instid0(VALU_DEP_2) | instskip(SKIP_1) | instid1(VALU_DEP_2)
	v_fma_f64 v[78:79], v[112:113], s[14:15], -v[152:153]
	v_fma_f64 v[152:153], v[112:113], s[14:15], v[152:153]
	v_add_f64 v[70:71], v[78:79], v[70:71]
	v_fma_f64 v[78:79], v[114:115], s[14:15], v[154:155]
	s_delay_alu instid0(VALU_DEP_3) | instskip(SKIP_2) | instid1(VALU_DEP_4)
	v_add_f64 v[68:69], v[152:153], v[68:69]
	v_fma_f64 v[152:153], v[114:115], s[14:15], -v[154:155]
	v_mul_f64 v[154:155], v[140:141], s[38:39]
	v_add_f64 v[76:77], v[78:79], v[76:77]
	v_fma_f64 v[78:79], v[104:105], s[4:5], -v[156:157]
	s_delay_alu instid0(VALU_DEP_4) | instskip(SKIP_2) | instid1(VALU_DEP_4)
	v_add_f64 v[150:151], v[152:153], v[150:151]
	v_fma_f64 v[152:153], v[104:105], s[4:5], v[156:157]
	v_mul_f64 v[156:157], v[138:139], s[38:39]
	v_add_f64 v[70:71], v[78:79], v[70:71]
	v_fma_f64 v[78:79], v[106:107], s[4:5], v[158:159]
	s_delay_alu instid0(VALU_DEP_4) | instskip(SKIP_2) | instid1(VALU_DEP_4)
	v_add_f64 v[68:69], v[152:153], v[68:69]
	v_fma_f64 v[152:153], v[106:107], s[4:5], -v[158:159]
	v_mul_f64 v[158:159], v[136:137], s[48:49]
	v_add_f64 v[76:77], v[78:79], v[76:77]
	v_fma_f64 v[78:79], v[96:97], s[10:11], -v[179:180]
	s_delay_alu instid0(VALU_DEP_4)
	v_add_f64 v[150:151], v[152:153], v[150:151]
	v_fma_f64 v[152:153], v[96:97], s[10:11], v[179:180]
	v_fma_f64 v[160:161], v[112:113], s[4:5], -v[158:159]
	v_fma_f64 v[158:159], v[112:113], s[4:5], v[158:159]
	v_add_f64 v[70:71], v[78:79], v[70:71]
	v_fma_f64 v[78:79], v[98:99], s[10:11], v[181:182]
	v_add_f64 v[68:69], v[152:153], v[68:69]
	v_fma_f64 v[152:153], v[98:99], s[10:11], -v[181:182]
	s_delay_alu instid0(VALU_DEP_3) | instskip(SKIP_1) | instid1(VALU_DEP_3)
	v_add_f64 v[76:77], v[78:79], v[76:77]
	v_fma_f64 v[78:79], v[88:89], s[16:17], -v[183:184]
	v_add_f64 v[150:151], v[152:153], v[150:151]
	v_fma_f64 v[152:153], v[88:89], s[16:17], v[183:184]
	s_delay_alu instid0(VALU_DEP_3) | instskip(SKIP_1) | instid1(VALU_DEP_3)
	v_add_f64 v[70:71], v[78:79], v[70:71]
	v_fma_f64 v[78:79], v[90:91], s[16:17], v[189:190]
	v_add_f64 v[68:69], v[152:153], v[68:69]
	v_fma_f64 v[152:153], v[90:91], s[16:17], -v[189:190]
	s_delay_alu instid0(VALU_DEP_3) | instskip(SKIP_1) | instid1(VALU_DEP_3)
	v_add_f64 v[76:77], v[78:79], v[76:77]
	v_fma_f64 v[78:79], v[84:85], s[22:23], -v[223:224]
	v_add_f64 v[150:151], v[152:153], v[150:151]
	v_fma_f64 v[152:153], v[84:85], s[22:23], v[223:224]
	s_delay_alu instid0(VALU_DEP_3) | instskip(SKIP_1) | instid1(VALU_DEP_3)
	;; [unrolled: 10-line block ×3, first 2 shown]
	v_add_f64 v[76:77], v[76:77], v[70:71]
	v_mul_f64 v[70:71], v[92:93], s[50:51]
	v_add_f64 v[68:69], v[152:153], v[68:69]
	v_fma_f64 v[152:153], v[120:121], s[14:15], v[156:157]
	v_fma_f64 v[156:157], v[120:121], s[14:15], -v[156:157]
	s_delay_alu instid0(VALU_DEP_4) | instskip(SKIP_1) | instid1(VALU_DEP_4)
	v_fma_f64 v[229:230], v[82:83], s[28:29], v[70:71]
	v_fma_f64 v[70:71], v[82:83], s[28:29], -v[70:71]
	v_add_f64 v[152:153], v[152:153], v[191:192]
	s_delay_alu instid0(VALU_DEP_4) | instskip(NEXT) | instid1(VALU_DEP_4)
	v_add_f64 v[156:157], v[156:157], v[193:194]
	v_add_f64 v[78:79], v[229:230], v[78:79]
	s_delay_alu instid0(VALU_DEP_4) | instskip(SKIP_2) | instid1(VALU_DEP_2)
	v_add_f64 v[70:71], v[70:71], v[150:151]
	v_fma_f64 v[150:151], v[118:119], s[14:15], -v[154:155]
	v_fma_f64 v[154:155], v[118:119], s[14:15], v[154:155]
	v_add_f64 v[150:151], v[150:151], v[164:165]
	s_delay_alu instid0(VALU_DEP_2) | instskip(SKIP_1) | instid1(VALU_DEP_3)
	v_add_f64 v[154:155], v[154:155], v[166:167]
	v_mul_f64 v[166:167], v[136:137], s[44:45]
	v_add_f64 v[150:151], v[160:161], v[150:151]
	v_mul_f64 v[160:161], v[134:135], s[48:49]
	s_delay_alu instid0(VALU_DEP_4) | instskip(NEXT) | instid1(VALU_DEP_2)
	v_add_f64 v[154:155], v[158:159], v[154:155]
	v_fma_f64 v[162:163], v[114:115], s[4:5], v[160:161]
	v_fma_f64 v[158:159], v[114:115], s[4:5], -v[160:161]
	s_delay_alu instid0(VALU_DEP_2) | instskip(SKIP_1) | instid1(VALU_DEP_3)
	v_add_f64 v[152:153], v[162:163], v[152:153]
	v_mul_f64 v[162:163], v[132:133], s[44:45]
	v_add_f64 v[156:157], v[158:159], v[156:157]
	s_delay_alu instid0(VALU_DEP_2) | instskip(SKIP_2) | instid1(VALU_DEP_3)
	v_fma_f64 v[164:165], v[104:105], s[16:17], -v[162:163]
	v_fma_f64 v[158:159], v[104:105], s[16:17], v[162:163]
	v_mul_f64 v[162:163], v[140:141], s[36:37]
	v_add_f64 v[150:151], v[164:165], v[150:151]
	v_mul_f64 v[164:165], v[130:131], s[44:45]
	s_delay_alu instid0(VALU_DEP_4) | instskip(NEXT) | instid1(VALU_DEP_2)
	v_add_f64 v[154:155], v[158:159], v[154:155]
	v_fma_f64 v[179:180], v[106:107], s[16:17], v[164:165]
	v_fma_f64 v[158:159], v[106:107], s[16:17], -v[164:165]
	v_mul_f64 v[164:165], v[138:139], s[36:37]
	s_delay_alu instid0(VALU_DEP_3) | instskip(SKIP_1) | instid1(VALU_DEP_4)
	v_add_f64 v[152:153], v[179:180], v[152:153]
	v_mul_f64 v[179:180], v[122:123], s[52:53]
	v_add_f64 v[156:157], v[158:159], v[156:157]
	s_delay_alu instid0(VALU_DEP_2) | instskip(SKIP_1) | instid1(VALU_DEP_2)
	v_fma_f64 v[181:182], v[96:97], s[24:25], -v[179:180]
	v_fma_f64 v[158:159], v[96:97], s[24:25], v[179:180]
	v_add_f64 v[150:151], v[181:182], v[150:151]
	v_mul_f64 v[181:182], v[116:117], s[52:53]
	s_delay_alu instid0(VALU_DEP_3) | instskip(NEXT) | instid1(VALU_DEP_2)
	v_add_f64 v[154:155], v[158:159], v[154:155]
	v_fma_f64 v[183:184], v[98:99], s[24:25], v[181:182]
	v_fma_f64 v[158:159], v[98:99], s[24:25], -v[181:182]
	s_delay_alu instid0(VALU_DEP_2) | instskip(SKIP_1) | instid1(VALU_DEP_3)
	v_add_f64 v[152:153], v[183:184], v[152:153]
	v_mul_f64 v[183:184], v[110:111], s[12:13]
	v_add_f64 v[156:157], v[158:159], v[156:157]
	s_delay_alu instid0(VALU_DEP_2) | instskip(SKIP_1) | instid1(VALU_DEP_2)
	v_fma_f64 v[189:190], v[88:89], s[28:29], -v[183:184]
	v_fma_f64 v[158:159], v[88:89], s[28:29], v[183:184]
	v_add_f64 v[150:151], v[189:190], v[150:151]
	v_mul_f64 v[189:190], v[108:109], s[12:13]
	s_delay_alu instid0(VALU_DEP_3) | instskip(NEXT) | instid1(VALU_DEP_2)
	v_add_f64 v[154:155], v[158:159], v[154:155]
	v_fma_f64 v[191:192], v[90:91], s[28:29], v[189:190]
	v_fma_f64 v[158:159], v[90:91], s[28:29], -v[189:190]
	s_delay_alu instid0(VALU_DEP_2) | instskip(SKIP_1) | instid1(VALU_DEP_3)
	;; [unrolled: 13-line block ×3, first 2 shown]
	v_add_f64 v[152:153], v[225:226], v[152:153]
	v_mul_f64 v[225:226], v[94:95], s[30:31]
	v_add_f64 v[156:157], v[158:159], v[156:157]
	s_delay_alu instid0(VALU_DEP_2) | instskip(SKIP_1) | instid1(VALU_DEP_2)
	v_fma_f64 v[227:228], v[80:81], s[10:11], -v[225:226]
	v_fma_f64 v[158:159], v[80:81], s[10:11], v[225:226]
	v_add_f64 v[150:151], v[227:228], v[150:151]
	v_mul_f64 v[227:228], v[92:93], s[30:31]
	s_delay_alu instid0(VALU_DEP_3) | instskip(SKIP_2) | instid1(VALU_DEP_4)
	v_add_f64 v[154:155], v[158:159], v[154:155]
	v_fma_f64 v[158:159], v[118:119], s[4:5], -v[162:163]
	v_fma_f64 v[162:163], v[118:119], s[4:5], v[162:163]
	v_fma_f64 v[160:161], v[82:83], s[10:11], -v[227:228]
	v_fma_f64 v[229:230], v[82:83], s[10:11], v[227:228]
	s_delay_alu instid0(VALU_DEP_4)
	v_add_f64 v[158:159], v[158:159], v[168:169]
	v_fma_f64 v[168:169], v[112:113], s[16:17], -v[166:167]
	v_add_f64 v[162:163], v[162:163], v[170:171]
	v_fma_f64 v[166:167], v[112:113], s[16:17], v[166:167]
	v_mul_f64 v[170:171], v[140:141], s[40:41]
	v_add_f64 v[156:157], v[160:161], v[156:157]
	v_fma_f64 v[160:161], v[120:121], s[4:5], v[164:165]
	v_fma_f64 v[164:165], v[120:121], s[4:5], -v[164:165]
	v_add_f64 v[158:159], v[168:169], v[158:159]
	v_mul_f64 v[168:169], v[134:135], s[44:45]
	v_add_f64 v[162:163], v[166:167], v[162:163]
	v_add_f64 v[152:153], v[229:230], v[152:153]
	;; [unrolled: 1-line block ×4, first 2 shown]
	v_fma_f64 v[179:180], v[114:115], s[16:17], v[168:169]
	v_fma_f64 v[166:167], v[114:115], s[16:17], -v[168:169]
	s_delay_alu instid0(VALU_DEP_2) | instskip(SKIP_1) | instid1(VALU_DEP_3)
	v_add_f64 v[160:161], v[179:180], v[160:161]
	v_mul_f64 v[179:180], v[132:133], s[50:51]
	v_add_f64 v[164:165], v[166:167], v[164:165]
	s_delay_alu instid0(VALU_DEP_2) | instskip(SKIP_2) | instid1(VALU_DEP_3)
	v_fma_f64 v[181:182], v[104:105], s[28:29], -v[179:180]
	v_fma_f64 v[166:167], v[104:105], s[28:29], v[179:180]
	v_mul_f64 v[179:180], v[136:137], s[52:53]
	v_add_f64 v[158:159], v[181:182], v[158:159]
	v_mul_f64 v[181:182], v[130:131], s[50:51]
	s_delay_alu instid0(VALU_DEP_4) | instskip(NEXT) | instid1(VALU_DEP_2)
	v_add_f64 v[162:163], v[166:167], v[162:163]
	v_fma_f64 v[183:184], v[106:107], s[28:29], v[181:182]
	v_fma_f64 v[166:167], v[106:107], s[28:29], -v[181:182]
	v_fma_f64 v[181:182], v[112:113], s[24:25], -v[179:180]
	v_fma_f64 v[179:180], v[112:113], s[24:25], v[179:180]
	s_delay_alu instid0(VALU_DEP_4) | instskip(SKIP_2) | instid1(VALU_DEP_2)
	v_add_f64 v[160:161], v[183:184], v[160:161]
	v_mul_f64 v[183:184], v[122:123], s[18:19]
	v_add_f64 v[164:165], v[166:167], v[164:165]
	v_fma_f64 v[189:190], v[96:97], s[22:23], -v[183:184]
	v_fma_f64 v[166:167], v[96:97], s[22:23], v[183:184]
	s_delay_alu instid0(VALU_DEP_2) | instskip(SKIP_1) | instid1(VALU_DEP_3)
	v_add_f64 v[158:159], v[189:190], v[158:159]
	v_mul_f64 v[189:190], v[116:117], s[18:19]
	v_add_f64 v[162:163], v[166:167], v[162:163]
	s_delay_alu instid0(VALU_DEP_2) | instskip(SKIP_1) | instid1(VALU_DEP_2)
	v_fma_f64 v[191:192], v[98:99], s[22:23], v[189:190]
	v_fma_f64 v[166:167], v[98:99], s[22:23], -v[189:190]
	v_add_f64 v[160:161], v[191:192], v[160:161]
	v_mul_f64 v[191:192], v[110:111], s[30:31]
	s_delay_alu instid0(VALU_DEP_3) | instskip(NEXT) | instid1(VALU_DEP_2)
	v_add_f64 v[164:165], v[166:167], v[164:165]
	v_fma_f64 v[193:194], v[88:89], s[10:11], -v[191:192]
	v_fma_f64 v[166:167], v[88:89], s[10:11], v[191:192]
	s_delay_alu instid0(VALU_DEP_2) | instskip(SKIP_1) | instid1(VALU_DEP_3)
	v_add_f64 v[158:159], v[193:194], v[158:159]
	v_mul_f64 v[193:194], v[108:109], s[30:31]
	v_add_f64 v[162:163], v[166:167], v[162:163]
	s_delay_alu instid0(VALU_DEP_2) | instskip(SKIP_1) | instid1(VALU_DEP_2)
	v_fma_f64 v[195:196], v[90:91], s[10:11], v[193:194]
	v_fma_f64 v[166:167], v[90:91], s[10:11], -v[193:194]
	v_add_f64 v[160:161], v[195:196], v[160:161]
	v_mul_f64 v[195:196], v[102:103], s[54:55]
	s_delay_alu instid0(VALU_DEP_3) | instskip(NEXT) | instid1(VALU_DEP_2)
	;; [unrolled: 13-line block ×3, first 2 shown]
	v_add_f64 v[164:165], v[166:167], v[164:165]
	v_fma_f64 v[227:228], v[80:81], s[24:25], -v[225:226]
	v_fma_f64 v[166:167], v[80:81], s[24:25], v[225:226]
	s_delay_alu instid0(VALU_DEP_2) | instskip(SKIP_1) | instid1(VALU_DEP_3)
	v_add_f64 v[158:159], v[227:228], v[158:159]
	v_mul_f64 v[227:228], v[92:93], s[52:53]
	v_add_f64 v[162:163], v[166:167], v[162:163]
	v_fma_f64 v[166:167], v[118:119], s[10:11], -v[170:171]
	v_fma_f64 v[170:171], v[118:119], s[10:11], v[170:171]
	s_delay_alu instid0(VALU_DEP_4) | instskip(SKIP_1) | instid1(VALU_DEP_4)
	v_fma_f64 v[168:169], v[82:83], s[24:25], -v[227:228]
	v_fma_f64 v[229:230], v[82:83], s[24:25], v[227:228]
	v_add_f64 v[166:167], v[166:167], v[172:173]
	v_mul_f64 v[172:173], v[138:139], s[40:41]
	v_add_f64 v[170:171], v[170:171], v[201:202]
	v_mul_f64 v[201:202], v[110:111], s[34:35]
	v_add_f64 v[164:165], v[168:169], v[164:165]
	v_add_f64 v[160:161], v[229:230], v[160:161]
	;; [unrolled: 1-line block ×3, first 2 shown]
	v_fma_f64 v[168:169], v[120:121], s[10:11], v[172:173]
	v_mul_f64 v[181:182], v[134:135], s[52:53]
	v_fma_f64 v[172:173], v[120:121], s[10:11], -v[172:173]
	v_add_f64 v[170:171], v[179:180], v[170:171]
	s_delay_alu instid0(VALU_DEP_4) | instskip(NEXT) | instid1(VALU_DEP_4)
	v_add_f64 v[168:169], v[168:169], v[199:200]
	v_fma_f64 v[183:184], v[114:115], s[24:25], v[181:182]
	s_delay_alu instid0(VALU_DEP_4) | instskip(SKIP_2) | instid1(VALU_DEP_4)
	v_add_f64 v[172:173], v[172:173], v[185:186]
	v_fma_f64 v[179:180], v[114:115], s[24:25], -v[181:182]
	v_mul_f64 v[185:186], v[138:139], s[44:45]
	v_add_f64 v[168:169], v[183:184], v[168:169]
	v_mul_f64 v[183:184], v[132:133], s[18:19]
	s_delay_alu instid0(VALU_DEP_4) | instskip(NEXT) | instid1(VALU_DEP_2)
	v_add_f64 v[172:173], v[179:180], v[172:173]
	v_fma_f64 v[189:190], v[104:105], s[22:23], -v[183:184]
	v_fma_f64 v[179:180], v[104:105], s[22:23], v[183:184]
	v_mul_f64 v[183:184], v[140:141], s[44:45]
	s_delay_alu instid0(VALU_DEP_3) | instskip(SKIP_1) | instid1(VALU_DEP_4)
	v_add_f64 v[166:167], v[189:190], v[166:167]
	v_mul_f64 v[189:190], v[130:131], s[18:19]
	v_add_f64 v[170:171], v[179:180], v[170:171]
	s_delay_alu instid0(VALU_DEP_2) | instskip(SKIP_2) | instid1(VALU_DEP_3)
	v_fma_f64 v[191:192], v[106:107], s[22:23], v[189:190]
	v_fma_f64 v[179:180], v[106:107], s[22:23], -v[189:190]
	v_mul_f64 v[189:190], v[136:137], s[12:13]
	v_add_f64 v[168:169], v[191:192], v[168:169]
	v_mul_f64 v[191:192], v[122:123], s[36:37]
	s_delay_alu instid0(VALU_DEP_4) | instskip(NEXT) | instid1(VALU_DEP_2)
	v_add_f64 v[172:173], v[179:180], v[172:173]
	v_fma_f64 v[193:194], v[96:97], s[4:5], -v[191:192]
	v_fma_f64 v[179:180], v[96:97], s[4:5], v[191:192]
	v_mul_f64 v[191:192], v[134:135], s[12:13]
	s_delay_alu instid0(VALU_DEP_3) | instskip(SKIP_1) | instid1(VALU_DEP_4)
	v_add_f64 v[166:167], v[193:194], v[166:167]
	v_mul_f64 v[193:194], v[116:117], s[36:37]
	v_add_f64 v[170:171], v[179:180], v[170:171]
	s_delay_alu instid0(VALU_DEP_2) | instskip(SKIP_2) | instid1(VALU_DEP_3)
	v_fma_f64 v[195:196], v[98:99], s[4:5], v[193:194]
	;; [unrolled: 15-line block ×4, first 2 shown]
	v_fma_f64 v[179:180], v[86:87], s[28:29], -v[223:224]
	v_mul_f64 v[223:224], v[102:103], s[36:37]
	v_add_f64 v[168:169], v[225:226], v[168:169]
	v_mul_f64 v[225:226], v[94:95], s[38:39]
	s_delay_alu instid0(VALU_DEP_4) | instskip(NEXT) | instid1(VALU_DEP_2)
	v_add_f64 v[172:173], v[179:180], v[172:173]
	v_fma_f64 v[227:228], v[80:81], s[14:15], -v[225:226]
	v_fma_f64 v[179:180], v[80:81], s[14:15], v[225:226]
	v_mul_f64 v[225:226], v[100:101], s[36:37]
	s_delay_alu instid0(VALU_DEP_3) | instskip(SKIP_1) | instid1(VALU_DEP_4)
	v_add_f64 v[166:167], v[227:228], v[166:167]
	v_mul_f64 v[227:228], v[92:93], s[38:39]
	v_add_f64 v[170:171], v[179:180], v[170:171]
	v_fma_f64 v[179:180], v[118:119], s[16:17], -v[183:184]
	v_fma_f64 v[183:184], v[118:119], s[16:17], v[183:184]
	s_delay_alu instid0(VALU_DEP_4) | instskip(SKIP_1) | instid1(VALU_DEP_4)
	v_fma_f64 v[181:182], v[82:83], s[14:15], -v[227:228]
	v_fma_f64 v[229:230], v[82:83], s[14:15], v[227:228]
	v_add_f64 v[174:175], v[179:180], v[174:175]
	v_fma_f64 v[179:180], v[120:121], s[16:17], v[185:186]
	v_fma_f64 v[185:186], v[120:121], s[16:17], -v[185:186]
	v_add_f64 v[183:184], v[183:184], v[205:206]
	v_mul_f64 v[227:228], v[94:95], s[46:47]
	v_add_f64 v[172:173], v[181:182], v[172:173]
	v_fma_f64 v[181:182], v[112:113], s[28:29], -v[189:190]
	v_add_f64 v[168:169], v[229:230], v[168:169]
	v_add_f64 v[179:180], v[179:180], v[203:204]
	;; [unrolled: 1-line block ×3, first 2 shown]
	v_fma_f64 v[187:188], v[112:113], s[28:29], v[189:190]
	v_mul_f64 v[203:204], v[108:109], s[34:35]
	v_add_f64 v[174:175], v[181:182], v[174:175]
	v_fma_f64 v[181:182], v[114:115], s[28:29], v[191:192]
	s_delay_alu instid0(VALU_DEP_4) | instskip(SKIP_2) | instid1(VALU_DEP_4)
	v_add_f64 v[183:184], v[187:188], v[183:184]
	v_fma_f64 v[187:188], v[114:115], s[28:29], -v[191:192]
	v_mul_f64 v[191:192], v[138:139], s[46:47]
	v_add_f64 v[179:180], v[181:182], v[179:180]
	v_fma_f64 v[181:182], v[104:105], s[10:11], -v[193:194]
	s_delay_alu instid0(VALU_DEP_4)
	v_add_f64 v[185:186], v[187:188], v[185:186]
	v_fma_f64 v[187:188], v[104:105], s[10:11], v[193:194]
	v_mul_f64 v[193:194], v[136:137], s[42:43]
	v_fma_f64 v[189:190], v[120:121], s[22:23], v[191:192]
	v_fma_f64 v[191:192], v[120:121], s[22:23], -v[191:192]
	v_add_f64 v[174:175], v[181:182], v[174:175]
	v_fma_f64 v[181:182], v[106:107], s[10:11], v[195:196]
	v_add_f64 v[183:184], v[187:188], v[183:184]
	v_fma_f64 v[187:188], v[106:107], s[10:11], -v[195:196]
	v_fma_f64 v[195:196], v[112:113], s[20:21], -v[193:194]
	v_add_f64 v[189:190], v[189:190], v[209:210]
	v_fma_f64 v[193:194], v[112:113], s[20:21], v[193:194]
	v_add_f64 v[191:192], v[191:192], v[215:216]
	v_add_f64 v[179:180], v[181:182], v[179:180]
	v_fma_f64 v[181:182], v[96:97], s[20:21], -v[197:198]
	v_add_f64 v[185:186], v[187:188], v[185:186]
	v_fma_f64 v[187:188], v[96:97], s[20:21], v[197:198]
	s_delay_alu instid0(VALU_DEP_3) | instskip(SKIP_1) | instid1(VALU_DEP_3)
	v_add_f64 v[174:175], v[181:182], v[174:175]
	v_fma_f64 v[181:182], v[98:99], s[20:21], v[199:200]
	v_add_f64 v[183:184], v[187:188], v[183:184]
	v_fma_f64 v[187:188], v[98:99], s[20:21], -v[199:200]
	s_delay_alu instid0(VALU_DEP_3) | instskip(SKIP_1) | instid1(VALU_DEP_3)
	v_add_f64 v[179:180], v[181:182], v[179:180]
	v_fma_f64 v[181:182], v[88:89], s[24:25], -v[201:202]
	v_add_f64 v[185:186], v[187:188], v[185:186]
	v_fma_f64 v[187:188], v[88:89], s[24:25], v[201:202]
	s_delay_alu instid0(VALU_DEP_3) | instskip(SKIP_1) | instid1(VALU_DEP_3)
	v_add_f64 v[174:175], v[181:182], v[174:175]
	v_fma_f64 v[181:182], v[90:91], s[24:25], v[203:204]
	v_add_f64 v[183:184], v[187:188], v[183:184]
	v_fma_f64 v[187:188], v[90:91], s[24:25], -v[203:204]
	s_delay_alu instid0(VALU_DEP_3) | instskip(SKIP_1) | instid1(VALU_DEP_3)
	;; [unrolled: 10-line block ×3, first 2 shown]
	v_add_f64 v[181:182], v[181:182], v[179:180]
	v_fma_f64 v[179:180], v[80:81], s[22:23], -v[227:228]
	v_add_f64 v[185:186], v[187:188], v[185:186]
	v_fma_f64 v[187:188], v[80:81], s[22:23], v[227:228]
	s_delay_alu instid0(VALU_DEP_3) | instskip(SKIP_1) | instid1(VALU_DEP_3)
	v_add_f64 v[179:180], v[179:180], v[174:175]
	v_mul_f64 v[174:175], v[92:93], s[46:47]
	v_add_f64 v[183:184], v[187:188], v[183:184]
	s_delay_alu instid0(VALU_DEP_2) | instskip(SKIP_1) | instid1(VALU_DEP_2)
	v_fma_f64 v[229:230], v[82:83], s[22:23], v[174:175]
	v_fma_f64 v[174:175], v[82:83], s[22:23], -v[174:175]
	v_add_f64 v[181:182], v[229:230], v[181:182]
	s_delay_alu instid0(VALU_DEP_2) | instskip(SKIP_1) | instid1(VALU_DEP_1)
	v_add_f64 v[185:186], v[174:175], v[185:186]
	v_mul_f64 v[174:175], v[140:141], s[46:47]
	v_fma_f64 v[187:188], v[118:119], s[22:23], -v[174:175]
	v_fma_f64 v[174:175], v[118:119], s[22:23], v[174:175]
	s_delay_alu instid0(VALU_DEP_2) | instskip(NEXT) | instid1(VALU_DEP_2)
	v_add_f64 v[187:188], v[187:188], v[207:208]
	v_add_f64 v[174:175], v[174:175], v[211:212]
	s_delay_alu instid0(VALU_DEP_2) | instskip(SKIP_1) | instid1(VALU_DEP_3)
	v_add_f64 v[187:188], v[195:196], v[187:188]
	v_mul_f64 v[195:196], v[134:135], s[42:43]
	v_add_f64 v[174:175], v[193:194], v[174:175]
	s_delay_alu instid0(VALU_DEP_2) | instskip(SKIP_1) | instid1(VALU_DEP_2)
	v_fma_f64 v[197:198], v[114:115], s[20:21], v[195:196]
	v_fma_f64 v[193:194], v[114:115], s[20:21], -v[195:196]
	v_add_f64 v[189:190], v[197:198], v[189:190]
	v_mul_f64 v[197:198], v[132:133], s[54:55]
	s_delay_alu instid0(VALU_DEP_3) | instskip(NEXT) | instid1(VALU_DEP_2)
	v_add_f64 v[191:192], v[193:194], v[191:192]
	v_fma_f64 v[199:200], v[104:105], s[14:15], -v[197:198]
	v_fma_f64 v[193:194], v[104:105], s[14:15], v[197:198]
	s_delay_alu instid0(VALU_DEP_2) | instskip(SKIP_1) | instid1(VALU_DEP_3)
	v_add_f64 v[187:188], v[199:200], v[187:188]
	v_mul_f64 v[199:200], v[130:131], s[54:55]
	v_add_f64 v[174:175], v[193:194], v[174:175]
	s_delay_alu instid0(VALU_DEP_2) | instskip(SKIP_3) | instid1(VALU_DEP_4)
	v_fma_f64 v[201:202], v[106:107], s[14:15], v[199:200]
	v_fma_f64 v[193:194], v[106:107], s[14:15], -v[199:200]
	v_mul_f64 v[199:200], v[138:139], s[50:51]
	v_mul_f64 v[138:139], v[138:139], s[34:35]
	v_add_f64 v[189:190], v[201:202], v[189:190]
	v_mul_f64 v[201:202], v[122:123], s[12:13]
	v_add_f64 v[191:192], v[193:194], v[191:192]
	v_fma_f64 v[197:198], v[120:121], s[28:29], v[199:200]
	v_fma_f64 v[199:200], v[120:121], s[28:29], -v[199:200]
	s_delay_alu instid0(VALU_DEP_4)
	v_fma_f64 v[203:204], v[96:97], s[28:29], -v[201:202]
	v_fma_f64 v[193:194], v[96:97], s[28:29], v[201:202]
	v_mul_f64 v[201:202], v[136:137], s[30:31]
	v_add_f64 v[197:198], v[197:198], v[213:214]
	v_add_f64 v[199:200], v[199:200], v[221:222]
	v_mul_f64 v[136:137], v[136:137], s[18:19]
	v_add_f64 v[187:188], v[203:204], v[187:188]
	v_mul_f64 v[203:204], v[116:117], s[12:13]
	v_add_f64 v[174:175], v[193:194], v[174:175]
	s_delay_alu instid0(VALU_DEP_2) | instskip(SKIP_3) | instid1(VALU_DEP_4)
	v_fma_f64 v[205:206], v[98:99], s[28:29], v[203:204]
	v_fma_f64 v[193:194], v[98:99], s[28:29], -v[203:204]
	v_fma_f64 v[203:204], v[112:113], s[10:11], -v[201:202]
	v_fma_f64 v[201:202], v[112:113], s[10:11], v[201:202]
	v_add_f64 v[189:190], v[205:206], v[189:190]
	v_mul_f64 v[205:206], v[110:111], s[36:37]
	v_add_f64 v[191:192], v[193:194], v[191:192]
	s_delay_alu instid0(VALU_DEP_2) | instskip(SKIP_1) | instid1(VALU_DEP_2)
	v_fma_f64 v[207:208], v[88:89], s[4:5], -v[205:206]
	v_fma_f64 v[193:194], v[88:89], s[4:5], v[205:206]
	v_add_f64 v[187:188], v[207:208], v[187:188]
	v_mul_f64 v[207:208], v[108:109], s[36:37]
	s_delay_alu instid0(VALU_DEP_3) | instskip(NEXT) | instid1(VALU_DEP_2)
	v_add_f64 v[174:175], v[193:194], v[174:175]
	v_fma_f64 v[209:210], v[90:91], s[4:5], v[207:208]
	v_fma_f64 v[193:194], v[90:91], s[4:5], -v[207:208]
	s_delay_alu instid0(VALU_DEP_2) | instskip(SKIP_1) | instid1(VALU_DEP_3)
	v_add_f64 v[189:190], v[209:210], v[189:190]
	v_mul_f64 v[209:210], v[102:103], s[52:53]
	v_add_f64 v[191:192], v[193:194], v[191:192]
	s_delay_alu instid0(VALU_DEP_2) | instskip(SKIP_1) | instid1(VALU_DEP_2)
	v_fma_f64 v[223:224], v[84:85], s[24:25], -v[209:210]
	v_fma_f64 v[193:194], v[84:85], s[24:25], v[209:210]
	v_add_f64 v[187:188], v[223:224], v[187:188]
	v_mul_f64 v[223:224], v[100:101], s[52:53]
	s_delay_alu instid0(VALU_DEP_3) | instskip(NEXT) | instid1(VALU_DEP_2)
	v_add_f64 v[174:175], v[193:194], v[174:175]
	v_fma_f64 v[225:226], v[86:87], s[24:25], v[223:224]
	v_fma_f64 v[193:194], v[86:87], s[24:25], -v[223:224]
	s_delay_alu instid0(VALU_DEP_2) | instskip(SKIP_1) | instid1(VALU_DEP_3)
	v_add_f64 v[189:190], v[225:226], v[189:190]
	v_mul_f64 v[225:226], v[94:95], s[26:27]
	v_add_f64 v[193:194], v[193:194], v[191:192]
	s_delay_alu instid0(VALU_DEP_2) | instskip(SKIP_1) | instid1(VALU_DEP_2)
	v_fma_f64 v[227:228], v[80:81], s[16:17], -v[225:226]
	v_fma_f64 v[191:192], v[80:81], s[16:17], v[225:226]
	v_add_f64 v[187:188], v[227:228], v[187:188]
	v_mul_f64 v[227:228], v[92:93], s[26:27]
	s_delay_alu instid0(VALU_DEP_3) | instskip(SKIP_2) | instid1(VALU_DEP_4)
	v_add_f64 v[191:192], v[191:192], v[174:175]
	v_mul_f64 v[174:175], v[140:141], s[50:51]
	v_mul_f64 v[140:141], v[140:141], s[34:35]
	v_fma_f64 v[195:196], v[82:83], s[16:17], -v[227:228]
	v_fma_f64 v[229:230], v[82:83], s[16:17], v[227:228]
	s_delay_alu instid0(VALU_DEP_2) | instskip(SKIP_2) | instid1(VALU_DEP_4)
	v_add_f64 v[193:194], v[195:196], v[193:194]
	v_fma_f64 v[195:196], v[118:119], s[28:29], -v[174:175]
	v_fma_f64 v[174:175], v[118:119], s[28:29], v[174:175]
	v_add_f64 v[189:190], v[229:230], v[189:190]
	s_delay_alu instid0(VALU_DEP_3) | instskip(NEXT) | instid1(VALU_DEP_3)
	v_add_f64 v[195:196], v[195:196], v[217:218]
	v_add_f64 v[174:175], v[174:175], v[219:220]
	s_delay_alu instid0(VALU_DEP_2) | instskip(SKIP_1) | instid1(VALU_DEP_3)
	v_add_f64 v[195:196], v[203:204], v[195:196]
	v_mul_f64 v[203:204], v[134:135], s[30:31]
	v_add_f64 v[174:175], v[201:202], v[174:175]
	v_mul_f64 v[134:135], v[134:135], s[18:19]
	s_delay_alu instid0(VALU_DEP_3) | instskip(SKIP_1) | instid1(VALU_DEP_2)
	v_fma_f64 v[205:206], v[114:115], s[10:11], v[203:204]
	v_fma_f64 v[201:202], v[114:115], s[10:11], -v[203:204]
	v_add_f64 v[197:198], v[205:206], v[197:198]
	v_mul_f64 v[205:206], v[132:133], s[52:53]
	s_delay_alu instid0(VALU_DEP_3) | instskip(SKIP_1) | instid1(VALU_DEP_3)
	v_add_f64 v[199:200], v[201:202], v[199:200]
	v_mul_f64 v[132:133], v[132:133], s[42:43]
	v_fma_f64 v[207:208], v[104:105], s[24:25], -v[205:206]
	v_fma_f64 v[201:202], v[104:105], s[24:25], v[205:206]
	s_delay_alu instid0(VALU_DEP_2) | instskip(SKIP_1) | instid1(VALU_DEP_3)
	v_add_f64 v[195:196], v[207:208], v[195:196]
	v_mul_f64 v[207:208], v[130:131], s[52:53]
	v_add_f64 v[174:175], v[201:202], v[174:175]
	v_mul_f64 v[130:131], v[130:131], s[42:43]
	s_delay_alu instid0(VALU_DEP_3) | instskip(SKIP_1) | instid1(VALU_DEP_2)
	v_fma_f64 v[209:210], v[106:107], s[24:25], v[207:208]
	v_fma_f64 v[201:202], v[106:107], s[24:25], -v[207:208]
	v_add_f64 v[197:198], v[209:210], v[197:198]
	v_mul_f64 v[209:210], v[122:123], s[38:39]
	s_delay_alu instid0(VALU_DEP_3) | instskip(SKIP_1) | instid1(VALU_DEP_3)
	v_add_f64 v[199:200], v[201:202], v[199:200]
	v_mul_f64 v[122:123], v[122:123], s[26:27]
	v_fma_f64 v[211:212], v[96:97], s[14:15], -v[209:210]
	v_fma_f64 v[201:202], v[96:97], s[14:15], v[209:210]
	;; [unrolled: 15-line block ×4, first 2 shown]
	s_delay_alu instid0(VALU_DEP_2) | instskip(SKIP_1) | instid1(VALU_DEP_3)
	v_add_f64 v[195:196], v[223:224], v[195:196]
	v_mul_f64 v[223:224], v[100:101], s[26:27]
	v_add_f64 v[174:175], v[201:202], v[174:175]
	v_mul_f64 v[100:101], v[100:101], s[30:31]
	s_delay_alu instid0(VALU_DEP_3) | instskip(SKIP_1) | instid1(VALU_DEP_2)
	v_fma_f64 v[225:226], v[86:87], s[16:17], v[223:224]
	v_fma_f64 v[201:202], v[86:87], s[16:17], -v[223:224]
	v_add_f64 v[197:198], v[225:226], v[197:198]
	v_mul_f64 v[225:226], v[94:95], s[56:57]
	s_delay_alu instid0(VALU_DEP_3) | instskip(NEXT) | instid1(VALU_DEP_2)
	v_add_f64 v[201:202], v[201:202], v[199:200]
	v_fma_f64 v[199:200], v[80:81], s[20:21], v[225:226]
	v_fma_f64 v[227:228], v[80:81], s[20:21], -v[225:226]
	s_delay_alu instid0(VALU_DEP_2) | instskip(SKIP_2) | instid1(VALU_DEP_4)
	v_add_f64 v[199:200], v[199:200], v[174:175]
	v_fma_f64 v[174:175], v[118:119], s[24:25], v[140:141]
	v_fma_f64 v[118:119], v[118:119], s[24:25], -v[140:141]
	v_add_f64 v[195:196], v[227:228], v[195:196]
	v_mul_f64 v[227:228], v[92:93], s[56:57]
	s_delay_alu instid0(VALU_DEP_4)
	v_add_f64 v[148:149], v[174:175], v[148:149]
	v_fma_f64 v[174:175], v[120:121], s[24:25], -v[138:139]
	v_fma_f64 v[120:121], v[120:121], s[24:25], v[138:139]
	v_add_f64 v[118:119], v[118:119], v[142:143]
	v_fma_f64 v[203:204], v[82:83], s[20:21], -v[227:228]
	v_fma_f64 v[229:230], v[82:83], s[20:21], v[227:228]
	v_add_f64 v[146:147], v[174:175], v[146:147]
	v_fma_f64 v[174:175], v[112:113], s[22:23], v[136:137]
	v_fma_f64 v[112:113], v[112:113], s[22:23], -v[136:137]
	v_add_f64 v[120:121], v[120:121], v[144:145]
	v_add_f64 v[201:202], v[203:204], v[201:202]
	v_mul_f64 v[203:204], v[92:93], s[36:37]
	v_add_f64 v[197:198], v[229:230], v[197:198]
	v_add_f64 v[148:149], v[174:175], v[148:149]
	v_fma_f64 v[174:175], v[114:115], s[22:23], -v[134:135]
	v_fma_f64 v[114:115], v[114:115], s[22:23], v[134:135]
	v_add_f64 v[112:113], v[112:113], v[118:119]
	s_delay_alu instid0(VALU_DEP_3) | instskip(SKIP_3) | instid1(VALU_DEP_3)
	v_add_f64 v[146:147], v[174:175], v[146:147]
	v_fma_f64 v[174:175], v[104:105], s[20:21], v[132:133]
	v_fma_f64 v[104:105], v[104:105], s[20:21], -v[132:133]
	v_add_f64 v[114:115], v[114:115], v[120:121]
	v_add_f64 v[148:149], v[174:175], v[148:149]
	v_fma_f64 v[174:175], v[106:107], s[20:21], -v[130:131]
	v_fma_f64 v[106:107], v[106:107], s[20:21], v[130:131]
	v_add_f64 v[104:105], v[104:105], v[112:113]
	s_delay_alu instid0(VALU_DEP_3) | instskip(SKIP_3) | instid1(VALU_DEP_3)
	v_add_f64 v[146:147], v[174:175], v[146:147]
	v_fma_f64 v[174:175], v[96:97], s[16:17], v[122:123]
	v_fma_f64 v[96:97], v[96:97], s[16:17], -v[122:123]
	;; [unrolled: 9-line block ×4, first 2 shown]
	v_add_f64 v[90:91], v[90:91], v[98:99]
	v_add_f64 v[148:149], v[174:175], v[148:149]
	v_fma_f64 v[174:175], v[86:87], s[10:11], -v[100:101]
	v_fma_f64 v[86:87], v[86:87], s[10:11], v[100:101]
	v_add_f64 v[84:85], v[84:85], v[88:89]
	s_delay_alu instid0(VALU_DEP_3) | instskip(SKIP_4) | instid1(VALU_DEP_4)
	v_add_f64 v[146:147], v[174:175], v[146:147]
	v_mul_f64 v[174:175], v[94:95], s[36:37]
	v_fma_f64 v[94:95], v[82:83], s[4:5], -v[203:204]
	v_fma_f64 v[82:83], v[82:83], s[4:5], v[203:204]
	v_add_f64 v[86:87], v[86:87], v[90:91]
	v_fma_f64 v[92:93], v[80:81], s[4:5], v[174:175]
	v_fma_f64 v[80:81], v[80:81], s[4:5], -v[174:175]
	v_add_f64 v[94:95], v[94:95], v[146:147]
	s_delay_alu instid0(VALU_DEP_4) | instskip(NEXT) | instid1(VALU_DEP_4)
	v_add_f64 v[82:83], v[82:83], v[86:87]
	v_add_f64 v[92:93], v[92:93], v[148:149]
	s_delay_alu instid0(VALU_DEP_4) | instskip(SKIP_1) | instid1(VALU_DEP_1)
	v_add_f64 v[80:81], v[80:81], v[84:85]
	v_mul_u32_u24_e32 v84, 0x110, v126
	v_add3_u32 v84, 0, v84, v178
	ds_store_b128 v84, v[76:79] offset:32
	ds_store_b128 v84, v[150:153] offset:48
	;; [unrolled: 1-line block ×16, first 2 shown]
	ds_store_b128 v84, v[72:75]
	v_cmpx_gt_u32_e32 7, v126
	s_cbranch_execz .LBB0_20
; %bb.19:
	v_add_f64 v[70:71], v[0:1], v[4:5]
	v_add_f64 v[68:69], v[2:3], v[6:7]
	;; [unrolled: 1-line block ×3, first 2 shown]
	s_delay_alu instid0(VALU_DEP_3) | instskip(NEXT) | instid1(VALU_DEP_3)
	v_add_f64 v[70:71], v[70:71], v[8:9]
	v_add_f64 v[68:69], v[68:69], v[10:11]
	s_delay_alu instid0(VALU_DEP_3)
	v_mul_f64 v[166:167], v[98:99], s[24:25]
	v_mul_f64 v[195:196], v[98:99], s[20:21]
	;; [unrolled: 1-line block ×4, first 2 shown]
	v_add_f64 v[70:71], v[70:71], v[20:21]
	v_add_f64 v[68:69], v[68:69], v[22:23]
	s_delay_alu instid0(VALU_DEP_2) | instskip(NEXT) | instid1(VALU_DEP_2)
	v_add_f64 v[70:71], v[70:71], v[28:29]
	v_add_f64 v[68:69], v[68:69], v[30:31]
	s_delay_alu instid0(VALU_DEP_2) | instskip(NEXT) | instid1(VALU_DEP_2)
	;; [unrolled: 3-line block ×5, first 2 shown]
	v_add_f64 v[74:75], v[70:71], v[64:65]
	v_add_f64 v[72:73], v[68:69], v[66:67]
	;; [unrolled: 1-line block ×3, first 2 shown]
	v_add_f64 v[70:71], v[66:67], -v[62:63]
	v_add_f64 v[66:67], v[64:65], -v[60:61]
	v_add_f64 v[64:65], v[64:65], v[60:61]
	v_add_f64 v[74:75], v[74:75], v[60:61]
	;; [unrolled: 1-line block ×4, first 2 shown]
	v_add_f64 v[60:61], v[58:59], -v[54:55]
	v_add_f64 v[58:59], v[56:57], -v[52:53]
	v_add_f64 v[56:57], v[56:57], v[52:53]
	v_mul_f64 v[158:159], v[70:71], s[56:57]
	v_mul_f64 v[156:157], v[68:69], s[20:21]
	;; [unrolled: 1-line block ×10, first 2 shown]
	v_add_f64 v[74:75], v[74:75], v[52:53]
	v_add_f64 v[72:73], v[72:73], v[54:55]
	v_add_f64 v[54:55], v[50:51], v[46:47]
	v_add_f64 v[52:53], v[50:51], -v[46:47]
	v_add_f64 v[50:51], v[48:49], -v[44:45]
	v_add_f64 v[48:49], v[48:49], v[44:45]
	v_mul_f64 v[160:161], v[60:61], s[36:37]
	v_mul_f64 v[187:188], v[62:63], s[10:11]
	;; [unrolled: 1-line block ×7, first 2 shown]
	v_add_f64 v[74:75], v[74:75], v[44:45]
	v_add_f64 v[72:73], v[72:73], v[46:47]
	;; [unrolled: 1-line block ×3, first 2 shown]
	v_add_f64 v[44:45], v[38:39], -v[42:43]
	v_add_f64 v[38:39], v[36:37], -v[40:41]
	v_add_f64 v[36:37], v[36:37], v[40:41]
	v_mul_f64 v[183:184], v[54:55], s[14:15]
	v_mul_f64 v[185:186], v[52:53], s[38:39]
	;; [unrolled: 1-line block ×6, first 2 shown]
	v_add_f64 v[74:75], v[74:75], v[40:41]
	v_add_f64 v[72:73], v[72:73], v[42:43]
	;; [unrolled: 1-line block ×3, first 2 shown]
	v_add_f64 v[40:41], v[30:31], -v[34:35]
	v_add_f64 v[30:31], v[28:29], -v[32:33]
	v_add_f64 v[28:29], v[28:29], v[32:33]
	v_mul_f64 v[179:180], v[46:47], s[16:17]
	v_mul_f64 v[181:182], v[44:45], s[26:27]
	;; [unrolled: 1-line block ×7, first 2 shown]
	v_add_f64 v[74:75], v[74:75], v[32:33]
	v_add_f64 v[72:73], v[72:73], v[34:35]
	;; [unrolled: 1-line block ×3, first 2 shown]
	v_add_f64 v[32:33], v[22:23], -v[26:27]
	v_add_f64 v[22:23], v[20:21], -v[24:25]
	v_add_f64 v[20:21], v[20:21], v[24:25]
	v_mul_f64 v[172:173], v[42:43], s[20:21]
	v_mul_f64 v[174:175], v[40:41], s[42:43]
	;; [unrolled: 1-line block ×5, first 2 shown]
	v_add_f64 v[74:75], v[74:75], v[24:25]
	v_add_f64 v[76:77], v[72:73], v[26:27]
	v_add_f64 v[72:73], v[10:11], -v[18:19]
	v_add_f64 v[24:25], v[8:9], -v[16:17]
	v_add_f64 v[26:27], v[8:9], v[16:17]
	v_mul_f64 v[170:171], v[32:33], s[18:19]
	v_mul_f64 v[199:200], v[34:35], s[14:15]
	;; [unrolled: 1-line block ×4, first 2 shown]
	v_add_f64 v[10:11], v[74:75], v[16:17]
	v_add_f64 v[16:17], v[6:7], v[14:15]
	;; [unrolled: 1-line block ×3, first 2 shown]
	v_add_f64 v[74:75], v[4:5], -v[12:13]
	v_add_f64 v[76:77], v[4:5], v[12:13]
	v_add_f64 v[18:19], v[6:7], -v[14:15]
	v_mul_f64 v[168:169], v[72:73], s[34:35]
	v_mul_f64 v[197:198], v[72:73], s[42:43]
	;; [unrolled: 1-line block ×4, first 2 shown]
	v_add_f64 v[138:139], v[10:11], v[12:13]
	v_mul_f64 v[12:13], v[16:17], s[14:15]
	v_add_f64 v[140:141], v[8:9], v[14:15]
	v_mul_f64 v[14:15], v[16:17], s[16:17]
	v_mul_f64 v[78:79], v[16:17], s[20:21]
	;; [unrolled: 1-line block ×13, first 2 shown]
	v_fma_f64 v[88:89], v[74:75], s[54:55], v[12:13]
	v_fma_f64 v[12:13], v[74:75], s[38:39], v[12:13]
	;; [unrolled: 1-line block ×8, first 2 shown]
	v_fma_f64 v[130:131], v[76:77], s[22:23], -v[110:111]
	v_fma_f64 v[110:111], v[76:77], s[22:23], v[110:111]
	v_fma_f64 v[84:85], v[74:75], s[48:49], v[8:9]
	;; [unrolled: 1-line block ×11, first 2 shown]
	v_mul_f64 v[74:75], v[18:19], s[36:37]
	v_mul_f64 v[18:19], v[18:19], s[12:13]
	v_fma_f64 v[116:117], v[76:77], s[10:11], v[102:103]
	v_fma_f64 v[102:103], v[76:77], s[10:11], -v[102:103]
	v_fma_f64 v[118:119], v[76:77], s[14:15], v[104:105]
	v_fma_f64 v[104:105], v[76:77], s[14:15], -v[104:105]
	v_fma_f64 v[106:107], v[76:77], s[16:17], -v[106:107]
	;; [unrolled: 1-line block ×4, first 2 shown]
	v_fma_f64 v[112:113], v[76:77], s[24:25], v[112:113]
	v_add_f64 v[88:89], v[2:3], v[88:89]
	v_add_f64 v[4:5], v[2:3], v[12:13]
	v_mul_f64 v[12:13], v[72:73], s[50:51]
	v_add_f64 v[130:131], v[0:1], v[130:131]
	v_add_f64 v[84:85], v[2:3], v[84:85]
	;; [unrolled: 1-line block ×7, first 2 shown]
	v_mul_f64 v[10:11], v[98:99], s[28:29]
	v_mul_f64 v[14:15], v[34:35], s[10:11]
	v_fma_f64 v[114:115], v[76:77], s[4:5], v[74:75]
	v_fma_f64 v[74:75], v[76:77], s[4:5], -v[74:75]
	v_fma_f64 v[134:135], v[76:77], s[28:29], -v[18:19]
	v_fma_f64 v[76:77], v[76:77], s[28:29], v[18:19]
	v_add_f64 v[116:117], v[0:1], v[116:117]
	v_add_f64 v[102:103], v[0:1], v[102:103]
	;; [unrolled: 1-line block ×6, first 2 shown]
	scratch_store_b64 off, v[4:5], off offset:80 ; 8-byte Folded Spill
	v_add_f64 v[4:5], v[2:3], v[90:91]
	v_add_f64 v[90:91], v[2:3], v[94:95]
	;; [unrolled: 1-line block ×6, first 2 shown]
	scratch_store_b64 off, v[4:5], off offset:72 ; 8-byte Folded Spill
	v_add_f64 v[4:5], v[0:1], v[120:121]
	scratch_store_b64 off, v[4:5], off offset:64 ; 8-byte Folded Spill
	v_add_f64 v[4:5], v[2:3], v[92:93]
	v_add_f64 v[92:93], v[2:3], v[96:97]
	;; [unrolled: 1-line block ×3, first 2 shown]
	scratch_store_b64 off, v[4:5], off offset:56 ; 8-byte Folded Spill
	v_add_f64 v[4:5], v[0:1], v[122:123]
	scratch_store_b64 off, v[4:5], off offset:48 ; 8-byte Folded Spill
	v_add_f64 v[4:5], v[2:3], v[80:81]
	;; [unrolled: 2-line block ×4, first 2 shown]
	v_add_f64 v[2:3], v[2:3], v[16:17]
	scratch_store_b64 off, v[4:5], off offset:24 ; 8-byte Folded Spill
	v_add_f64 v[4:5], v[0:1], v[112:113]
	v_add_f64 v[0:1], v[0:1], v[76:77]
	v_fma_f64 v[76:77], v[22:23], s[40:41], v[14:15]
	scratch_store_b64 off, v[2:3], off offset:8 ; 8-byte Folded Spill
	v_fma_f64 v[2:3], v[26:27], s[28:29], v[12:13]
	s_clause 0x1
	scratch_store_b64 off, v[4:5], off offset:16
	scratch_store_b64 off, v[0:1], off
	v_fma_f64 v[0:1], v[24:25], s[12:13], v[10:11]
	v_fma_f64 v[10:11], v[24:25], s[50:51], v[10:11]
	v_mul_f64 v[4:5], v[62:63], s[14:15]
	v_add_f64 v[2:3], v[2:3], v[114:115]
	s_delay_alu instid0(VALU_DEP_4) | instskip(NEXT) | instid1(VALU_DEP_4)
	v_add_f64 v[0:1], v[0:1], v[84:85]
	v_add_f64 v[8:9], v[10:11], v[8:9]
	v_fma_f64 v[10:11], v[26:27], s[28:29], -v[12:13]
	v_fma_f64 v[12:13], v[22:23], s[30:31], v[14:15]
	v_fma_f64 v[14:15], v[64:65], s[20:21], -v[158:159]
	v_add_f64 v[0:1], v[76:77], v[0:1]
	v_mul_f64 v[76:77], v[32:33], s[30:31]
	v_add_f64 v[10:11], v[10:11], v[74:75]
	v_add_f64 v[8:9], v[12:13], v[8:9]
	v_mul_f64 v[74:75], v[98:99], s[22:23]
	s_delay_alu instid0(VALU_DEP_4) | instskip(SKIP_2) | instid1(VALU_DEP_3)
	v_fma_f64 v[78:79], v[20:21], s[10:11], v[76:77]
	v_fma_f64 v[12:13], v[20:21], s[10:11], -v[76:77]
	v_mul_f64 v[76:77], v[72:73], s[46:47]
	v_add_f64 v[2:3], v[78:79], v[2:3]
	v_mul_f64 v[78:79], v[42:43], s[24:25]
	s_delay_alu instid0(VALU_DEP_4) | instskip(NEXT) | instid1(VALU_DEP_2)
	v_add_f64 v[10:11], v[12:13], v[10:11]
	v_fma_f64 v[80:81], v[30:31], s[34:35], v[78:79]
	v_fma_f64 v[12:13], v[30:31], s[52:53], v[78:79]
	v_mul_f64 v[78:79], v[34:35], s[20:21]
	s_delay_alu instid0(VALU_DEP_3) | instskip(SKIP_1) | instid1(VALU_DEP_4)
	v_add_f64 v[0:1], v[80:81], v[0:1]
	v_mul_f64 v[80:81], v[40:41], s[52:53]
	v_add_f64 v[8:9], v[12:13], v[8:9]
	s_delay_alu instid0(VALU_DEP_2) | instskip(SKIP_3) | instid1(VALU_DEP_4)
	v_fma_f64 v[82:83], v[28:29], s[24:25], v[80:81]
	v_fma_f64 v[12:13], v[28:29], s[24:25], -v[80:81]
	v_fma_f64 v[80:81], v[22:23], s[56:57], v[78:79]
	v_fma_f64 v[78:79], v[22:23], s[42:43], v[78:79]
	v_add_f64 v[2:3], v[82:83], v[2:3]
	v_mul_f64 v[82:83], v[46:47], s[14:15]
	v_add_f64 v[10:11], v[12:13], v[10:11]
	s_delay_alu instid0(VALU_DEP_2) | instskip(SKIP_1) | instid1(VALU_DEP_2)
	v_fma_f64 v[84:85], v[38:39], s[54:55], v[82:83]
	v_fma_f64 v[12:13], v[38:39], s[38:39], v[82:83]
	v_add_f64 v[0:1], v[84:85], v[0:1]
	v_mul_f64 v[84:85], v[44:45], s[38:39]
	s_delay_alu instid0(VALU_DEP_3) | instskip(NEXT) | instid1(VALU_DEP_2)
	v_add_f64 v[8:9], v[12:13], v[8:9]
	v_fma_f64 v[114:115], v[36:37], s[14:15], v[84:85]
	v_fma_f64 v[12:13], v[36:37], s[14:15], -v[84:85]
	s_delay_alu instid0(VALU_DEP_2) | instskip(SKIP_1) | instid1(VALU_DEP_3)
	v_add_f64 v[2:3], v[114:115], v[2:3]
	v_mul_f64 v[114:115], v[54:55], s[22:23]
	v_add_f64 v[10:11], v[12:13], v[10:11]
	s_delay_alu instid0(VALU_DEP_2) | instskip(SKIP_1) | instid1(VALU_DEP_2)
	v_fma_f64 v[148:149], v[50:51], s[18:19], v[114:115]
	v_fma_f64 v[12:13], v[50:51], s[46:47], v[114:115]
	v_add_f64 v[0:1], v[148:149], v[0:1]
	v_mul_f64 v[148:149], v[52:53], s[46:47]
	s_delay_alu instid0(VALU_DEP_3) | instskip(NEXT) | instid1(VALU_DEP_2)
	v_add_f64 v[8:9], v[12:13], v[8:9]
	v_fma_f64 v[150:151], v[48:49], s[22:23], v[148:149]
	v_fma_f64 v[12:13], v[48:49], s[22:23], -v[148:149]
	s_delay_alu instid0(VALU_DEP_2) | instskip(SKIP_1) | instid1(VALU_DEP_3)
	v_add_f64 v[2:3], v[150:151], v[2:3]
	v_mul_f64 v[150:151], v[62:63], s[16:17]
	v_add_f64 v[10:11], v[12:13], v[10:11]
	s_delay_alu instid0(VALU_DEP_2) | instskip(SKIP_1) | instid1(VALU_DEP_2)
	v_fma_f64 v[152:153], v[58:59], s[44:45], v[150:151]
	v_fma_f64 v[12:13], v[58:59], s[26:27], v[150:151]
	v_add_f64 v[0:1], v[152:153], v[0:1]
	v_mul_f64 v[152:153], v[60:61], s[26:27]
	s_delay_alu instid0(VALU_DEP_3) | instskip(NEXT) | instid1(VALU_DEP_2)
	v_add_f64 v[8:9], v[12:13], v[8:9]
	v_fma_f64 v[12:13], v[56:57], s[16:17], -v[152:153]
	v_fma_f64 v[154:155], v[56:57], s[16:17], v[152:153]
	s_delay_alu instid0(VALU_DEP_2) | instskip(NEXT) | instid1(VALU_DEP_2)
	v_add_f64 v[12:13], v[12:13], v[10:11]
	v_add_f64 v[154:155], v[154:155], v[2:3]
	v_fma_f64 v[2:3], v[66:67], s[42:43], v[156:157]
	v_fma_f64 v[10:11], v[66:67], s[56:57], v[156:157]
	v_mul_f64 v[156:157], v[68:69], s[16:17]
	v_add_f64 v[120:121], v[14:15], v[12:13]
	v_fma_f64 v[12:13], v[24:25], s[18:19], v[74:75]
	v_fma_f64 v[14:15], v[26:27], s[22:23], v[76:77]
	;; [unrolled: 1-line block ×3, first 2 shown]
	v_fma_f64 v[76:77], v[26:27], s[22:23], -v[76:77]
	v_add_f64 v[134:135], v[2:3], v[0:1]
	v_fma_f64 v[0:1], v[64:65], s[20:21], v[158:159]
	v_mul_f64 v[158:159], v[70:71], s[26:27]
	v_add_f64 v[122:123], v[10:11], v[8:9]
	v_mul_f64 v[8:9], v[44:45], s[18:19]
	v_fma_f64 v[10:11], v[58:59], s[54:55], v[4:5]
	v_mul_f64 v[2:3], v[68:69], s[24:25]
	v_mul_f64 v[68:69], v[68:69], s[14:15]
	v_fma_f64 v[4:5], v[58:59], s[38:39], v[4:5]
	v_add_f64 v[12:13], v[12:13], v[86:87]
	v_add_f64 v[14:15], v[14:15], v[116:117]
	;; [unrolled: 1-line block ×4, first 2 shown]
	v_mul_f64 v[102:103], v[98:99], s[16:17]
	v_mul_f64 v[136:137], v[42:43], s[10:11]
	v_add_f64 v[132:133], v[0:1], v[154:155]
	v_mul_f64 v[0:1], v[54:55], s[10:11]
	v_add_f64 v[12:13], v[80:81], v[12:13]
	v_mul_f64 v[80:81], v[32:33], s[42:43]
	v_add_f64 v[74:75], v[78:79], v[74:75]
	s_delay_alu instid0(VALU_DEP_2) | instskip(SKIP_2) | instid1(VALU_DEP_3)
	v_fma_f64 v[82:83], v[20:21], s[20:21], v[80:81]
	v_fma_f64 v[78:79], v[20:21], s[20:21], -v[80:81]
	v_fma_f64 v[80:81], v[64:65], s[16:17], -v[158:159]
	v_add_f64 v[14:15], v[82:83], v[14:15]
	v_mul_f64 v[82:83], v[42:43], s[14:15]
	s_delay_alu instid0(VALU_DEP_4) | instskip(NEXT) | instid1(VALU_DEP_2)
	v_add_f64 v[76:77], v[78:79], v[76:77]
	v_fma_f64 v[84:85], v[30:31], s[38:39], v[82:83]
	v_fma_f64 v[78:79], v[30:31], s[54:55], v[82:83]
	s_delay_alu instid0(VALU_DEP_2) | instskip(SKIP_1) | instid1(VALU_DEP_3)
	v_add_f64 v[12:13], v[84:85], v[12:13]
	v_mul_f64 v[84:85], v[40:41], s[54:55]
	v_add_f64 v[74:75], v[78:79], v[74:75]
	s_delay_alu instid0(VALU_DEP_2) | instskip(SKIP_2) | instid1(VALU_DEP_3)
	v_fma_f64 v[86:87], v[28:29], s[14:15], v[84:85]
	v_fma_f64 v[78:79], v[28:29], s[14:15], -v[84:85]
	v_fma_f64 v[84:85], v[26:27], s[24:25], -v[168:169]
	v_add_f64 v[14:15], v[86:87], v[14:15]
	v_mul_f64 v[86:87], v[46:47], s[28:29]
	s_delay_alu instid0(VALU_DEP_4) | instskip(NEXT) | instid1(VALU_DEP_4)
	v_add_f64 v[76:77], v[78:79], v[76:77]
	v_add_f64 v[84:85], v[84:85], v[100:101]
	v_mul_f64 v[100:101], v[34:35], s[22:23]
	s_delay_alu instid0(VALU_DEP_4) | instskip(SKIP_1) | instid1(VALU_DEP_3)
	v_fma_f64 v[114:115], v[38:39], s[50:51], v[86:87]
	v_fma_f64 v[78:79], v[38:39], s[12:13], v[86:87]
	;; [unrolled: 1-line block ×3, first 2 shown]
	s_delay_alu instid0(VALU_DEP_3) | instskip(SKIP_1) | instid1(VALU_DEP_4)
	v_add_f64 v[12:13], v[114:115], v[12:13]
	v_mul_f64 v[114:115], v[44:45], s[12:13]
	v_add_f64 v[74:75], v[78:79], v[74:75]
	s_delay_alu instid0(VALU_DEP_2) | instskip(SKIP_2) | instid1(VALU_DEP_3)
	v_fma_f64 v[116:117], v[36:37], s[28:29], v[114:115]
	v_fma_f64 v[78:79], v[36:37], s[28:29], -v[114:115]
	v_mul_f64 v[114:115], v[72:73], s[44:45]
	v_add_f64 v[14:15], v[116:117], v[14:15]
	v_mul_f64 v[116:117], v[54:55], s[4:5]
	s_delay_alu instid0(VALU_DEP_4) | instskip(NEXT) | instid1(VALU_DEP_2)
	v_add_f64 v[76:77], v[78:79], v[76:77]
	v_fma_f64 v[148:149], v[50:51], s[48:49], v[116:117]
	v_fma_f64 v[78:79], v[50:51], s[36:37], v[116:117]
	v_mul_f64 v[116:117], v[34:35], s[28:29]
	s_delay_alu instid0(VALU_DEP_3) | instskip(SKIP_1) | instid1(VALU_DEP_4)
	v_add_f64 v[12:13], v[148:149], v[12:13]
	v_mul_f64 v[148:149], v[52:53], s[36:37]
	v_add_f64 v[74:75], v[78:79], v[74:75]
	s_delay_alu instid0(VALU_DEP_4) | instskip(NEXT) | instid1(VALU_DEP_3)
	v_fma_f64 v[82:83], v[22:23], s[50:51], v[116:117]
	v_fma_f64 v[150:151], v[48:49], s[4:5], v[148:149]
	v_fma_f64 v[78:79], v[48:49], s[4:5], -v[148:149]
	v_mul_f64 v[148:149], v[40:41], s[30:31]
	s_delay_alu instid0(VALU_DEP_3) | instskip(SKIP_1) | instid1(VALU_DEP_4)
	v_add_f64 v[14:15], v[150:151], v[14:15]
	v_mul_f64 v[150:151], v[62:63], s[24:25]
	v_add_f64 v[76:77], v[78:79], v[76:77]
	s_delay_alu instid0(VALU_DEP_2) | instskip(SKIP_3) | instid1(VALU_DEP_4)
	v_fma_f64 v[152:153], v[58:59], s[34:35], v[150:151]
	v_fma_f64 v[78:79], v[58:59], s[52:53], v[150:151]
	v_mul_f64 v[150:151], v[46:47], s[20:21]
	v_mul_f64 v[46:47], v[46:47], s[4:5]
	v_add_f64 v[12:13], v[152:153], v[12:13]
	v_mul_f64 v[152:153], v[60:61], s[52:53]
	v_add_f64 v[74:75], v[78:79], v[74:75]
	s_delay_alu instid0(VALU_DEP_2) | instskip(SKIP_3) | instid1(VALU_DEP_4)
	v_fma_f64 v[78:79], v[56:57], s[24:25], -v[152:153]
	v_fma_f64 v[154:155], v[56:57], s[24:25], v[152:153]
	v_mul_f64 v[152:153], v[44:45], s[56:57]
	v_mul_f64 v[44:45], v[44:45], s[36:37]
	v_add_f64 v[78:79], v[78:79], v[76:77]
	s_delay_alu instid0(VALU_DEP_4)
	v_add_f64 v[154:155], v[154:155], v[14:15]
	v_fma_f64 v[14:15], v[66:67], s[44:45], v[156:157]
	v_fma_f64 v[76:77], v[66:67], s[26:27], v[156:157]
	v_mul_f64 v[156:157], v[52:53], s[34:35]
	v_mul_f64 v[52:53], v[52:53], s[56:57]
	v_add_f64 v[104:105], v[80:81], v[78:79]
	v_fma_f64 v[78:79], v[24:25], s[26:27], v[102:103]
	v_fma_f64 v[80:81], v[26:27], s[16:17], v[114:115]
	v_add_f64 v[112:113], v[14:15], v[12:13]
	v_fma_f64 v[12:13], v[64:65], s[16:17], v[158:159]
	v_mul_f64 v[158:159], v[62:63], s[4:5]
	v_add_f64 v[106:107], v[76:77], v[74:75]
	v_mov_b32_e32 v74, v178
	v_mov_b32_e32 v178, v232
	v_mul_f64 v[231:232], v[40:41], s[44:45]
	v_fma_f64 v[14:15], v[66:67], s[52:53], v[2:3]
	scratch_load_b64 v[75:76], off, off offset:80 ; 8-byte Folded Reload
	v_mul_f64 v[62:63], v[62:63], s[28:29]
	v_fma_f64 v[2:3], v[66:67], s[34:35], v[2:3]
	v_add_f64 v[78:79], v[78:79], v[88:89]
	v_add_f64 v[80:81], v[80:81], v[118:119]
	v_mul_f64 v[118:119], v[32:33], s[12:13]
	v_add_f64 v[110:111], v[12:13], v[154:155]
	v_mul_f64 v[154:155], v[54:55], s[24:25]
	v_fma_f64 v[88:89], v[26:27], s[20:21], -v[197:198]
	v_mul_f64 v[12:13], v[40:41], s[50:51]
	v_mul_f64 v[40:41], v[40:41], s[18:19]
	;; [unrolled: 1-line block ×3, first 2 shown]
	v_add_f64 v[78:79], v[82:83], v[78:79]
	v_fma_f64 v[82:83], v[20:21], s[28:29], v[118:119]
	v_add_f64 v[88:89], v[88:89], v[96:97]
	s_delay_alu instid0(VALU_DEP_2) | instskip(SKIP_1) | instid1(VALU_DEP_1)
	v_add_f64 v[80:81], v[82:83], v[80:81]
	v_fma_f64 v[82:83], v[30:31], s[40:41], v[136:137]
	v_add_f64 v[78:79], v[82:83], v[78:79]
	v_fma_f64 v[82:83], v[28:29], s[10:11], v[148:149]
	s_delay_alu instid0(VALU_DEP_1) | instskip(SKIP_1) | instid1(VALU_DEP_1)
	v_add_f64 v[80:81], v[82:83], v[80:81]
	v_fma_f64 v[82:83], v[38:39], s[42:43], v[150:151]
	v_add_f64 v[78:79], v[82:83], v[78:79]
	v_fma_f64 v[82:83], v[36:37], s[20:21], v[152:153]
	s_delay_alu instid0(VALU_DEP_1) | instskip(SKIP_1) | instid1(VALU_DEP_1)
	;; [unrolled: 5-line block ×5, first 2 shown]
	v_add_f64 v[78:79], v[78:79], v[82:83]
	v_fma_f64 v[82:83], v[24:25], s[34:35], v[166:167]
	v_add_f64 v[82:83], v[82:83], v[94:95]
	s_delay_alu instid0(VALU_DEP_1) | instskip(SKIP_1) | instid1(VALU_DEP_1)
	v_add_f64 v[82:83], v[86:87], v[82:83]
	v_fma_f64 v[86:87], v[20:21], s[22:23], -v[170:171]
	v_add_f64 v[84:85], v[86:87], v[84:85]
	v_fma_f64 v[86:87], v[30:31], s[42:43], v[172:173]
	s_delay_alu instid0(VALU_DEP_1) | instskip(SKIP_1) | instid1(VALU_DEP_1)
	v_add_f64 v[82:83], v[86:87], v[82:83]
	v_fma_f64 v[86:87], v[28:29], s[20:21], -v[174:175]
	v_add_f64 v[84:85], v[86:87], v[84:85]
	v_fma_f64 v[86:87], v[38:39], s[26:27], v[179:180]
	;; [unrolled: 5-line block ×6, first 2 shown]
	s_delay_alu instid0(VALU_DEP_1) | instskip(SKIP_1) | instid1(VALU_DEP_1)
	v_add_f64 v[86:87], v[86:87], v[92:93]
	v_fma_f64 v[92:93], v[22:23], s[38:39], v[199:200]
	v_add_f64 v[86:87], v[92:93], v[86:87]
	v_fma_f64 v[92:93], v[20:21], s[14:15], -v[201:202]
	s_delay_alu instid0(VALU_DEP_1) | instskip(SKIP_1) | instid1(VALU_DEP_1)
	v_add_f64 v[88:89], v[92:93], v[88:89]
	v_fma_f64 v[92:93], v[30:31], s[36:37], v[203:204]
	v_add_f64 v[86:87], v[92:93], v[86:87]
	v_fma_f64 v[92:93], v[28:29], s[4:5], -v[205:206]
	;; [unrolled: 5-line block ×7, first 2 shown]
	s_delay_alu instid0(VALU_DEP_1) | instskip(SKIP_1) | instid1(VALU_DEP_1)
	v_add_f64 v[92:93], v[92:93], v[130:131]
	v_mul_f64 v[130:131], v[34:35], s[4:5]
	v_fma_f64 v[94:95], v[22:23], s[48:49], v[130:131]
	s_delay_alu instid0(VALU_DEP_1) | instskip(SKIP_1) | instid1(VALU_DEP_1)
	v_add_f64 v[90:91], v[94:95], v[90:91]
	v_fma_f64 v[94:95], v[20:21], s[4:5], -v[227:228]
	v_add_f64 v[92:93], v[94:95], v[92:93]
	v_fma_f64 v[94:95], v[30:31], s[44:45], v[229:230]
	s_delay_alu instid0(VALU_DEP_1) | instskip(SKIP_1) | instid1(VALU_DEP_1)
	v_add_f64 v[90:91], v[94:95], v[90:91]
	v_fma_f64 v[94:95], v[28:29], s[16:17], -v[231:232]
	v_add_f64 v[92:93], v[94:95], v[92:93]
	;; [unrolled: 5-line block ×6, first 2 shown]
	v_fma_f64 v[94:95], v[24:25], s[36:37], v[249:250]
	s_delay_alu instid0(VALU_DEP_1) | instskip(SKIP_2) | instid1(VALU_DEP_2)
	v_add_f64 v[94:95], v[94:95], v[146:147]
	v_mul_f64 v[146:147], v[72:73], s[36:37]
	v_mul_f64 v[72:73], v[72:73], s[40:41]
	v_fma_f64 v[96:97], v[26:27], s[4:5], -v[146:147]
	s_delay_alu instid0(VALU_DEP_1) | instskip(SKIP_1) | instid1(VALU_DEP_1)
	v_add_f64 v[96:97], v[96:97], v[108:109]
	v_mul_f64 v[108:109], v[34:35], s[16:17]
	v_fma_f64 v[251:252], v[22:23], s[44:45], v[108:109]
	s_delay_alu instid0(VALU_DEP_1) | instskip(SKIP_1) | instid1(VALU_DEP_1)
	v_add_f64 v[94:95], v[251:252], v[94:95]
	v_mul_f64 v[251:252], v[32:33], s[44:45]
	v_fma_f64 v[253:254], v[20:21], s[16:17], -v[251:252]
	s_delay_alu instid0(VALU_DEP_1) | instskip(SKIP_2) | instid1(VALU_DEP_2)
	v_add_f64 v[96:97], v[253:254], v[96:97]
	v_mul_f64 v[253:254], v[42:43], s[28:29]
	v_mul_f64 v[42:43], v[42:43], s[22:23]
	v_fma_f64 v[16:17], v[30:31], s[50:51], v[253:254]
	s_delay_alu instid0(VALU_DEP_1) | instskip(SKIP_2) | instid1(VALU_DEP_2)
	v_add_f64 v[16:17], v[16:17], v[94:95]
	v_fma_f64 v[94:95], v[28:29], s[28:29], -v[12:13]
	v_fma_f64 v[12:13], v[28:29], s[28:29], v[12:13]
	v_add_f64 v[94:95], v[94:95], v[96:97]
	v_fma_f64 v[96:97], v[38:39], s[18:19], v[176:177]
	s_delay_alu instid0(VALU_DEP_1) | instskip(SKIP_2) | instid1(VALU_DEP_2)
	v_add_f64 v[16:17], v[96:97], v[16:17]
	v_fma_f64 v[96:97], v[36:37], s[22:23], -v[8:9]
	v_fma_f64 v[8:9], v[36:37], s[22:23], v[8:9]
	v_add_f64 v[94:95], v[96:97], v[94:95]
	v_fma_f64 v[96:97], v[50:51], s[30:31], v[0:1]
	v_fma_f64 v[0:1], v[50:51], s[40:41], v[0:1]
	s_delay_alu instid0(VALU_DEP_2) | instskip(SKIP_2) | instid1(VALU_DEP_3)
	v_add_f64 v[16:17], v[96:97], v[16:17]
	v_fma_f64 v[96:97], v[48:49], s[10:11], -v[6:7]
	v_fma_f64 v[6:7], v[48:49], s[10:11], v[6:7]
	v_add_f64 v[10:11], v[10:11], v[16:17]
	v_mul_f64 v[16:17], v[60:61], s[54:55]
	s_delay_alu instid0(VALU_DEP_4) | instskip(SKIP_1) | instid1(VALU_DEP_3)
	v_add_f64 v[94:95], v[96:97], v[94:95]
	v_mul_f64 v[60:61], v[60:61], s[12:13]
	v_fma_f64 v[96:97], v[56:57], s[14:15], -v[16:17]
	s_delay_alu instid0(VALU_DEP_1) | instskip(SKIP_3) | instid1(VALU_DEP_2)
	v_add_f64 v[94:95], v[96:97], v[94:95]
	v_add_f64 v[96:97], v[14:15], v[10:11]
	v_mul_f64 v[10:11], v[70:71], s[52:53]
	v_mul_f64 v[70:71], v[70:71], s[38:39]
	v_fma_f64 v[14:15], v[64:65], s[24:25], -v[10:11]
	s_delay_alu instid0(VALU_DEP_1) | instskip(SKIP_1) | instid1(VALU_DEP_1)
	v_add_f64 v[94:95], v[14:15], v[94:95]
	v_mul_f64 v[14:15], v[98:99], s[10:11]
	v_fma_f64 v[98:99], v[24:25], s[40:41], v[14:15]
	v_fma_f64 v[14:15], v[24:25], s[30:31], v[14:15]
	s_delay_alu instid0(VALU_DEP_2) | instskip(SKIP_1) | instid1(VALU_DEP_1)
	v_add_f64 v[98:99], v[98:99], v[142:143]
	v_fma_f64 v[142:143], v[26:27], s[10:11], -v[72:73]
	v_add_f64 v[18:19], v[142:143], v[18:19]
	v_mul_f64 v[142:143], v[34:35], s[24:25]
	s_delay_alu instid0(VALU_DEP_1) | instskip(NEXT) | instid1(VALU_DEP_1)
	v_fma_f64 v[34:35], v[22:23], s[52:53], v[142:143]
	v_add_f64 v[34:35], v[34:35], v[98:99]
	v_mul_f64 v[98:99], v[32:33], s[52:53]
	s_delay_alu instid0(VALU_DEP_1) | instskip(NEXT) | instid1(VALU_DEP_1)
	v_fma_f64 v[32:33], v[20:21], s[24:25], -v[98:99]
	v_add_f64 v[18:19], v[32:33], v[18:19]
	v_fma_f64 v[32:33], v[30:31], s[18:19], v[42:43]
	v_fma_f64 v[42:43], v[30:31], s[46:47], v[42:43]
	s_delay_alu instid0(VALU_DEP_2) | instskip(SKIP_2) | instid1(VALU_DEP_2)
	v_add_f64 v[32:33], v[32:33], v[34:35]
	v_fma_f64 v[34:35], v[28:29], s[22:23], -v[40:41]
	v_fma_f64 v[40:41], v[28:29], s[22:23], v[40:41]
	v_add_f64 v[18:19], v[34:35], v[18:19]
	v_fma_f64 v[34:35], v[38:39], s[36:37], v[46:47]
	s_delay_alu instid0(VALU_DEP_1) | instskip(SKIP_1) | instid1(VALU_DEP_1)
	v_add_f64 v[32:33], v[34:35], v[32:33]
	v_fma_f64 v[34:35], v[36:37], s[4:5], -v[44:45]
	v_add_f64 v[18:19], v[34:35], v[18:19]
	v_fma_f64 v[34:35], v[50:51], s[56:57], v[54:55]
	s_delay_alu instid0(VALU_DEP_1) | instskip(SKIP_1) | instid1(VALU_DEP_1)
	v_add_f64 v[32:33], v[34:35], v[32:33]
	v_fma_f64 v[34:35], v[48:49], s[20:21], -v[52:53]
	;; [unrolled: 5-line block ×4, first 2 shown]
	v_add_f64 v[32:33], v[32:33], v[18:19]
	v_fma_f64 v[18:19], v[24:25], s[44:45], v[102:103]
	v_fma_f64 v[102:103], v[26:27], s[16:17], -v[114:115]
	v_fma_f64 v[114:115], v[22:23], s[12:13], v[116:117]
	s_waitcnt vmcnt(0)
	s_delay_alu instid0(VALU_DEP_3) | instskip(NEXT) | instid1(VALU_DEP_3)
	v_add_f64 v[18:19], v[18:19], v[75:76]
	v_add_f64 v[102:103], v[102:103], v[144:145]
	s_delay_alu instid0(VALU_DEP_2) | instskip(SKIP_2) | instid1(VALU_DEP_2)
	v_add_f64 v[18:19], v[114:115], v[18:19]
	v_fma_f64 v[114:115], v[20:21], s[28:29], -v[118:119]
	v_fma_f64 v[118:119], v[64:65], s[22:23], -v[164:165]
	v_add_f64 v[102:103], v[114:115], v[102:103]
	v_fma_f64 v[114:115], v[30:31], s[30:31], v[136:137]
	s_delay_alu instid0(VALU_DEP_1) | instskip(SKIP_1) | instid1(VALU_DEP_1)
	v_add_f64 v[18:19], v[114:115], v[18:19]
	v_fma_f64 v[114:115], v[28:29], s[10:11], -v[148:149]
	v_add_f64 v[102:103], v[114:115], v[102:103]
	v_fma_f64 v[114:115], v[38:39], s[56:57], v[150:151]
	s_delay_alu instid0(VALU_DEP_1) | instskip(SKIP_1) | instid1(VALU_DEP_1)
	v_add_f64 v[18:19], v[114:115], v[18:19]
	;; [unrolled: 5-line block ×4, first 2 shown]
	v_fma_f64 v[114:115], v[56:57], s[4:5], -v[160:161]
	v_add_f64 v[102:103], v[114:115], v[102:103]
	v_fma_f64 v[114:115], v[66:67], s[46:47], v[162:163]
	s_delay_alu instid0(VALU_DEP_1)
	v_add_f64 v[116:117], v[114:115], v[18:19]
	scratch_load_b64 v[18:19], off, off offset:72 ; 8-byte Folded Reload
	v_add_f64 v[114:115], v[118:119], v[102:103]
	s_waitcnt vmcnt(0)
	v_add_f64 v[14:15], v[14:15], v[18:19]
	v_fma_f64 v[18:19], v[26:27], s[10:11], v[72:73]
	scratch_load_b64 v[72:73], off, off offset:64 ; 8-byte Folded Reload
	s_waitcnt vmcnt(0)
	v_add_f64 v[18:19], v[18:19], v[72:73]
	v_fma_f64 v[72:73], v[22:23], s[34:35], v[142:143]
	s_delay_alu instid0(VALU_DEP_1) | instskip(SKIP_1) | instid1(VALU_DEP_2)
	v_add_f64 v[14:15], v[72:73], v[14:15]
	v_fma_f64 v[72:73], v[20:21], s[24:25], v[98:99]
	v_add_f64 v[14:15], v[42:43], v[14:15]
	s_delay_alu instid0(VALU_DEP_2) | instskip(SKIP_1) | instid1(VALU_DEP_2)
	v_add_f64 v[18:19], v[72:73], v[18:19]
	v_fma_f64 v[42:43], v[64:65], s[14:15], v[70:71]
	v_add_f64 v[18:19], v[40:41], v[18:19]
	v_fma_f64 v[40:41], v[38:39], s[48:49], v[46:47]
	s_delay_alu instid0(VALU_DEP_1) | instskip(SKIP_1) | instid1(VALU_DEP_1)
	v_add_f64 v[14:15], v[40:41], v[14:15]
	v_fma_f64 v[40:41], v[36:37], s[4:5], v[44:45]
	v_add_f64 v[18:19], v[40:41], v[18:19]
	v_fma_f64 v[40:41], v[50:51], s[42:43], v[54:55]
	s_delay_alu instid0(VALU_DEP_1) | instskip(SKIP_1) | instid1(VALU_DEP_1)
	v_add_f64 v[14:15], v[40:41], v[14:15]
	v_fma_f64 v[40:41], v[48:49], s[20:21], v[52:53]
	v_add_f64 v[18:19], v[40:41], v[18:19]
	v_fma_f64 v[40:41], v[58:59], s[50:51], v[62:63]
	s_delay_alu instid0(VALU_DEP_1) | instskip(SKIP_1) | instid1(VALU_DEP_1)
	v_add_f64 v[14:15], v[40:41], v[14:15]
	v_fma_f64 v[40:41], v[56:57], s[28:29], v[60:61]
	v_add_f64 v[18:19], v[40:41], v[18:19]
	v_fma_f64 v[40:41], v[66:67], s[54:55], v[68:69]
	s_delay_alu instid0(VALU_DEP_2) | instskip(SKIP_4) | instid1(VALU_DEP_1)
	v_add_f64 v[44:45], v[42:43], v[18:19]
	scratch_load_b64 v[18:19], off, off offset:56 ; 8-byte Folded Reload
	v_add_f64 v[46:47], v[40:41], v[14:15]
	v_fma_f64 v[14:15], v[24:25], s[48:49], v[249:250]
	s_waitcnt vmcnt(0)
	v_add_f64 v[14:15], v[14:15], v[18:19]
	v_fma_f64 v[18:19], v[22:23], s[26:27], v[108:109]
	s_delay_alu instid0(VALU_DEP_1) | instskip(SKIP_1) | instid1(VALU_DEP_1)
	v_add_f64 v[14:15], v[18:19], v[14:15]
	v_fma_f64 v[18:19], v[30:31], s[12:13], v[253:254]
	v_add_f64 v[14:15], v[18:19], v[14:15]
	v_fma_f64 v[18:19], v[38:39], s[46:47], v[176:177]
	s_delay_alu instid0(VALU_DEP_1) | instskip(SKIP_3) | instid1(VALU_DEP_2)
	v_add_f64 v[14:15], v[18:19], v[14:15]
	scratch_load_b64 v[18:19], off, off offset:48 ; 8-byte Folded Reload
	v_add_f64 v[0:1], v[0:1], v[14:15]
	v_fma_f64 v[14:15], v[26:27], s[4:5], v[146:147]
	v_add_f64 v[0:1], v[4:5], v[0:1]
	v_fma_f64 v[4:5], v[56:57], s[14:15], v[16:17]
	s_delay_alu instid0(VALU_DEP_2)
	v_add_f64 v[54:55], v[2:3], v[0:1]
	scratch_load_b64 v[2:3], off, off offset:40 ; 8-byte Folded Reload
	v_fma_f64 v[0:1], v[24:25], s[54:55], v[223:224]
	s_waitcnt vmcnt(1)
	v_add_f64 v[14:15], v[14:15], v[18:19]
	v_fma_f64 v[18:19], v[20:21], s[16:17], v[251:252]
	s_delay_alu instid0(VALU_DEP_1) | instskip(NEXT) | instid1(VALU_DEP_1)
	v_add_f64 v[14:15], v[18:19], v[14:15]
	v_add_f64 v[12:13], v[12:13], v[14:15]
	s_delay_alu instid0(VALU_DEP_1) | instskip(NEXT) | instid1(VALU_DEP_1)
	v_add_f64 v[8:9], v[8:9], v[12:13]
	v_add_f64 v[6:7], v[6:7], v[8:9]
	scratch_load_b64 v[8:9], off, off       ; 8-byte Folded Reload
	v_add_f64 v[4:5], v[4:5], v[6:7]
	v_fma_f64 v[6:7], v[64:65], s[24:25], v[10:11]
	s_delay_alu instid0(VALU_DEP_1)
	v_add_f64 v[52:53], v[6:7], v[4:5]
	scratch_load_b64 v[4:5], off, off offset:32 ; 8-byte Folded Reload
	s_waitcnt vmcnt(2)
	v_add_f64 v[0:1], v[0:1], v[2:3]
	v_fma_f64 v[2:3], v[26:27], s[14:15], v[225:226]
	v_fma_f64 v[6:7], v[64:65], s[10:11], v[247:248]
	s_waitcnt vmcnt(0)
	s_delay_alu instid0(VALU_DEP_2) | instskip(SKIP_1) | instid1(VALU_DEP_1)
	v_add_f64 v[2:3], v[2:3], v[4:5]
	v_fma_f64 v[4:5], v[22:23], s[36:37], v[130:131]
	v_add_f64 v[0:1], v[4:5], v[0:1]
	v_fma_f64 v[4:5], v[20:21], s[4:5], v[227:228]
	s_delay_alu instid0(VALU_DEP_1) | instskip(SKIP_1) | instid1(VALU_DEP_1)
	v_add_f64 v[2:3], v[4:5], v[2:3]
	v_fma_f64 v[4:5], v[30:31], s[26:27], v[229:230]
	v_add_f64 v[0:1], v[4:5], v[0:1]
	v_fma_f64 v[4:5], v[28:29], s[16:17], v[231:232]
	v_mov_b32_e32 v232, v178
	v_mov_b32_e32 v178, v74
	s_delay_alu instid0(VALU_DEP_3) | instskip(SKIP_1) | instid1(VALU_DEP_1)
	v_add_f64 v[2:3], v[4:5], v[2:3]
	v_fma_f64 v[4:5], v[38:39], s[34:35], v[233:234]
	v_add_f64 v[0:1], v[4:5], v[0:1]
	v_fma_f64 v[4:5], v[36:37], s[24:25], v[235:236]
	s_delay_alu instid0(VALU_DEP_1) | instskip(SKIP_1) | instid1(VALU_DEP_1)
	v_add_f64 v[2:3], v[4:5], v[2:3]
	v_fma_f64 v[4:5], v[50:51], s[50:51], v[237:238]
	v_add_f64 v[0:1], v[4:5], v[0:1]
	v_fma_f64 v[4:5], v[48:49], s[28:29], v[239:240]
	s_delay_alu instid0(VALU_DEP_1) | instskip(SKIP_1) | instid1(VALU_DEP_1)
	v_add_f64 v[2:3], v[4:5], v[2:3]
	v_fma_f64 v[4:5], v[58:59], s[56:57], v[241:242]
	v_add_f64 v[0:1], v[4:5], v[0:1]
	v_fma_f64 v[4:5], v[56:57], s[20:21], v[243:244]
	s_delay_alu instid0(VALU_DEP_1) | instskip(SKIP_1) | instid1(VALU_DEP_2)
	v_add_f64 v[2:3], v[4:5], v[2:3]
	v_fma_f64 v[4:5], v[66:67], s[40:41], v[245:246]
	v_add_f64 v[60:61], v[6:7], v[2:3]
	scratch_load_b64 v[2:3], off, off offset:24 ; 8-byte Folded Reload
	v_add_f64 v[62:63], v[4:5], v[0:1]
	scratch_load_b64 v[4:5], off, off offset:16 ; 8-byte Folded Reload
	v_fma_f64 v[0:1], v[24:25], s[56:57], v[195:196]
	v_fma_f64 v[6:7], v[64:65], s[28:29], v[221:222]
	s_waitcnt vmcnt(1)
	s_delay_alu instid0(VALU_DEP_2) | instskip(SKIP_2) | instid1(VALU_DEP_1)
	v_add_f64 v[0:1], v[0:1], v[2:3]
	v_fma_f64 v[2:3], v[26:27], s[20:21], v[197:198]
	s_waitcnt vmcnt(0)
	v_add_f64 v[2:3], v[2:3], v[4:5]
	v_fma_f64 v[4:5], v[22:23], s[54:55], v[199:200]
	s_delay_alu instid0(VALU_DEP_1) | instskip(SKIP_1) | instid1(VALU_DEP_1)
	v_add_f64 v[0:1], v[4:5], v[0:1]
	v_fma_f64 v[4:5], v[20:21], s[14:15], v[201:202]
	v_add_f64 v[2:3], v[4:5], v[2:3]
	v_fma_f64 v[4:5], v[30:31], s[48:49], v[203:204]
	s_delay_alu instid0(VALU_DEP_1) | instskip(SKIP_1) | instid1(VALU_DEP_1)
	v_add_f64 v[0:1], v[4:5], v[0:1]
	v_fma_f64 v[4:5], v[28:29], s[4:5], v[205:206]
	;; [unrolled: 5-line block ×5, first 2 shown]
	v_add_f64 v[2:3], v[4:5], v[2:3]
	v_fma_f64 v[4:5], v[66:67], s[12:13], v[219:220]
	s_delay_alu instid0(VALU_DEP_2)
	v_add_f64 v[68:69], v[6:7], v[2:3]
	scratch_load_b64 v[6:7], off, off offset:8 ; 8-byte Folded Reload
	v_add_f64 v[70:71], v[4:5], v[0:1]
	v_fma_f64 v[0:1], v[24:25], s[52:53], v[166:167]
	v_fma_f64 v[2:3], v[26:27], s[24:25], v[168:169]
	;; [unrolled: 1-line block ×3, first 2 shown]
	s_delay_alu instid0(VALU_DEP_2) | instskip(SKIP_4) | instid1(VALU_DEP_2)
	v_add_f64 v[2:3], v[2:3], v[8:9]
	v_fma_f64 v[8:9], v[30:31], s[56:57], v[172:173]
	s_waitcnt vmcnt(0)
	v_add_f64 v[0:1], v[0:1], v[6:7]
	v_fma_f64 v[6:7], v[20:21], s[22:23], v[170:171]
	v_add_f64 v[0:1], v[4:5], v[0:1]
	v_fma_f64 v[4:5], v[28:29], s[20:21], v[174:175]
	s_delay_alu instid0(VALU_DEP_3) | instskip(SKIP_1) | instid1(VALU_DEP_4)
	v_add_f64 v[2:3], v[6:7], v[2:3]
	v_fma_f64 v[6:7], v[38:39], s[44:45], v[179:180]
	v_add_f64 v[0:1], v[8:9], v[0:1]
	v_fma_f64 v[8:9], v[36:37], s[16:17], v[181:182]
	s_delay_alu instid0(VALU_DEP_4) | instskip(SKIP_1) | instid1(VALU_DEP_4)
	v_add_f64 v[2:3], v[4:5], v[2:3]
	v_fma_f64 v[4:5], v[50:51], s[54:55], v[183:184]
	v_add_f64 v[0:1], v[6:7], v[0:1]
	v_fma_f64 v[6:7], v[48:49], s[14:15], v[185:186]
	s_delay_alu instid0(VALU_DEP_4) | instskip(SKIP_1) | instid1(VALU_DEP_4)
	v_add_f64 v[2:3], v[8:9], v[2:3]
	v_fma_f64 v[8:9], v[58:59], s[40:41], v[187:188]
	v_add_f64 v[0:1], v[4:5], v[0:1]
	v_fma_f64 v[4:5], v[56:57], s[10:11], v[189:190]
	s_delay_alu instid0(VALU_DEP_4) | instskip(SKIP_1) | instid1(VALU_DEP_4)
	v_add_f64 v[2:3], v[6:7], v[2:3]
	v_fma_f64 v[6:7], v[66:67], s[48:49], v[191:192]
	v_add_f64 v[0:1], v[8:9], v[0:1]
	v_fma_f64 v[8:9], v[64:65], s[4:5], v[193:194]
	s_delay_alu instid0(VALU_DEP_4) | instskip(NEXT) | instid1(VALU_DEP_3)
	v_add_f64 v[2:3], v[4:5], v[2:3]
	v_add_f64 v[18:19], v[6:7], v[0:1]
	v_add_nc_u32_e32 v0, 17, v126
	s_delay_alu instid0(VALU_DEP_3) | instskip(NEXT) | instid1(VALU_DEP_2)
	v_add_f64 v[16:17], v[8:9], v[2:3]
	v_mul_u32_u24_e32 v0, 0x110, v0
	s_delay_alu instid0(VALU_DEP_1)
	v_add3_u32 v0, 0, v0, v178
	ds_store_b128 v0, v[138:141]
	ds_store_b128 v0, v[82:85] offset:16
	ds_store_b128 v0, v[86:89] offset:32
	;; [unrolled: 1-line block ×16, first 2 shown]
.LBB0_20:
	s_or_b32 exec_lo, exec_lo, s1
	v_add_nc_u16 v2, v126, 34
	v_add_nc_u16 v3, v126, 51
	;; [unrolled: 1-line block ×3, first 2 shown]
	v_lshlrev_b32_e32 v130, 1, v126
	v_add_nc_u16 v5, v126, 0x55
	v_dual_mov_b32 v131, 0 :: v_dual_and_b32 v0, 0xff, v2
	v_and_b32_e32 v9, 0xff, v3
	v_and_b32_e32 v10, 0xff, v4
	s_delay_alu instid0(VALU_DEP_4) | instskip(NEXT) | instid1(VALU_DEP_4)
	v_and_b32_e32 v11, 0xff, v5
	v_mul_lo_u16 v0, 0xf1, v0
	v_add_nc_u16 v6, v126, 0x66
	v_mul_lo_u16 v9, 0xf1, v9
	v_mul_lo_u16 v10, 0xf1, v10
	v_add_nc_u16 v7, v126, 0x77
	v_lshrrev_b16 v8, 12, v0
	v_lshlrev_b64 v[0:1], 4, v[130:131]
	v_lshrrev_b16 v9, 12, v9
	v_and_b32_e32 v12, 0xff, v6
	v_lshrrev_b16 v10, 12, v10
	v_mul_lo_u16 v8, v8, 17
	v_and_b32_e32 v13, 0xff, v7
	v_add_co_u32 v0, s0, s8, v0
	s_delay_alu instid0(VALU_DEP_1) | instskip(NEXT) | instid1(VALU_DEP_4)
	v_add_co_ci_u32_e64 v1, s0, s9, v1, s0
	v_sub_nc_u16 v2, v2, v8
	v_mul_lo_u16 v8, 0xf1, v11
	v_mul_lo_u16 v9, v9, 17
	;; [unrolled: 1-line block ×4, first 2 shown]
	v_and_b32_e32 v183, 0xff, v2
	v_lshrrev_b16 v2, 12, v8
	s_waitcnt lgkmcnt(0)
	s_waitcnt_vscnt null, 0x0
	s_barrier
	buffer_gl0_inv
	v_lshlrev_b32_e32 v8, 5, v183
	v_mul_lo_u16 v2, v2, 17
	s_clause 0x3
	global_load_b128 v[184:187], v[0:1], off offset:16
	global_load_b128 v[188:191], v[0:1], off
	global_load_b128 v[24:27], v8, s[8:9] offset:16
	global_load_b128 v[28:31], v8, s[8:9]
	v_sub_nc_u16 v0, v3, v9
	v_mul_lo_u16 v3, 0xf1, v13
	v_sub_nc_u16 v1, v4, v10
	v_lshrrev_b16 v4, 12, v11
	v_sub_nc_u16 v2, v5, v2
	v_and_b32_e32 v130, 0xff, v0
	v_lshrrev_b16 v0, 12, v3
	v_and_b32_e32 v179, 0xff, v1
	v_mul_lo_u16 v1, v4, 17
	v_and_b32_e32 v180, 0xff, v2
	v_lshlrev_b32_e32 v3, 5, v130
	v_mul_lo_u16 v0, v0, 17
	v_lshlrev_b32_e32 v4, 5, v179
	v_sub_nc_u16 v1, v6, v1
	s_clause 0x1
	global_load_b128 v[34:37], v3, s[8:9] offset:16
	global_load_b128 v[46:49], v3, s[8:9]
	v_sub_nc_u16 v0, v7, v0
	s_clause 0x1
	global_load_b128 v[54:57], v4, s[8:9]
	global_load_b128 v[50:53], v4, s[8:9] offset:16
	v_and_b32_e32 v181, 0xff, v1
	v_lshlrev_b32_e32 v1, 5, v180
	s_clause 0x1
	global_load_b128 v[62:65], v1, s[8:9]
	global_load_b128 v[58:61], v1, s[8:9] offset:16
	v_and_b32_e32 v182, 0xff, v0
	v_lshlrev_b32_e32 v0, 5, v181
	s_mov_b32 s0, 0xe8584caa
	s_mov_b32 s1, 0x3febb67a
	;; [unrolled: 1-line block ×3, first 2 shown]
	v_lshlrev_b32_e32 v1, 5, v182
	s_clause 0x3
	global_load_b128 v[42:45], v0, s[8:9]
	global_load_b128 v[38:41], v0, s[8:9] offset:16
	global_load_b128 v[72:75], v1, s[8:9]
	global_load_b128 v[68:71], v1, s[8:9] offset:16
	ds_load_b128 v[172:175], v127 offset:2176
	ds_load_b128 v[192:195], v127 offset:4352
	;; [unrolled: 1-line block ×3, first 2 shown]
	ds_load_b128 v[20:23], v255
	ds_load_b128 v[16:19], v127 offset:272
	ds_load_b128 v[200:203], v127 offset:4624
	;; [unrolled: 1-line block ×18, first 2 shown]
	s_mov_b32 s4, s0
	s_waitcnt vmcnt(13) lgkmcnt(20)
	v_mul_f64 v[206:207], v[194:195], v[186:187]
	s_waitcnt vmcnt(12)
	v_mul_f64 v[176:177], v[174:175], v[190:191]
	v_mul_f64 v[204:205], v[172:173], v[190:191]
	v_mul_f64 v[208:209], v[192:193], v[186:187]
	s_waitcnt lgkmcnt(19)
	v_mul_f64 v[210:211], v[198:199], v[190:191]
	v_mul_f64 v[190:191], v[196:197], v[190:191]
	s_waitcnt lgkmcnt(16)
	v_mul_f64 v[212:213], v[202:203], v[186:187]
	v_mul_f64 v[186:187], v[200:201], v[186:187]
	s_waitcnt vmcnt(10) lgkmcnt(13)
	v_mul_f64 v[132:133], v[106:107], v[30:31]
	s_waitcnt lgkmcnt(11)
	v_mul_f64 v[136:137], v[118:119], v[26:27]
	v_mul_f64 v[134:135], v[104:105], v[30:31]
	;; [unrolled: 1-line block ×3, first 2 shown]
	s_waitcnt vmcnt(9) lgkmcnt(10)
	v_mul_f64 v[142:143], v[94:95], v[36:37]
	s_waitcnt vmcnt(8)
	v_mul_f64 v[140:141], v[86:87], v[48:49]
	v_mul_f64 v[48:49], v[84:85], v[48:49]
	;; [unrolled: 1-line block ×3, first 2 shown]
	s_waitcnt vmcnt(7) lgkmcnt(7)
	v_mul_f64 v[146:147], v[98:99], v[56:57]
	s_waitcnt vmcnt(6) lgkmcnt(5)
	v_mul_f64 v[148:149], v[102:103], v[52:53]
	v_mul_f64 v[56:57], v[96:97], v[56:57]
	v_mul_f64 v[52:53], v[100:101], v[52:53]
	s_waitcnt vmcnt(5)
	v_mul_f64 v[150:151], v[78:79], v[64:65]
	s_waitcnt vmcnt(4) lgkmcnt(4)
	v_mul_f64 v[154:155], v[82:83], v[60:61]
	v_mul_f64 v[152:153], v[76:77], v[64:65]
	;; [unrolled: 1-line block ×3, first 2 shown]
	ds_load_b128 v[64:67], v127 offset:1632
	ds_load_b128 v[30:33], v127 offset:1904
	s_waitcnt vmcnt(0) lgkmcnt(0)
	s_barrier
	v_mul_f64 v[156:157], v[122:123], v[44:45]
	v_mul_f64 v[160:161], v[90:91], v[40:41]
	v_mul_f64 v[158:159], v[120:121], v[44:45]
	v_mul_f64 v[162:163], v[88:89], v[40:41]
	v_mul_f64 v[164:165], v[110:111], v[74:75]
	v_mul_f64 v[168:169], v[114:115], v[70:71]
	v_mul_f64 v[166:167], v[108:109], v[74:75]
	v_mul_f64 v[170:171], v[112:113], v[70:71]
	v_fma_f64 v[70:71], v[172:173], v[188:189], -v[176:177]
	v_fma_f64 v[74:75], v[174:175], v[188:189], v[204:205]
	v_fma_f64 v[36:37], v[192:193], v[184:185], -v[206:207]
	v_fma_f64 v[26:27], v[194:195], v[184:185], v[208:209]
	;; [unrolled: 2-line block ×4, first 2 shown]
	v_fma_f64 v[104:105], v[104:105], v[28:29], -v[132:133]
	v_fma_f64 v[116:117], v[116:117], v[24:25], -v[136:137]
	v_fma_f64 v[28:29], v[106:107], v[28:29], v[134:135]
	v_fma_f64 v[24:25], v[118:119], v[24:25], v[138:139]
	v_mul_u32_u24_e32 v176, 7, v126
	v_lshlrev_b32_e32 v177, 4, v183
	v_fma_f64 v[92:93], v[92:93], v[34:35], -v[142:143]
	v_fma_f64 v[84:85], v[84:85], v[46:47], -v[140:141]
	v_fma_f64 v[46:47], v[86:87], v[46:47], v[48:49]
	v_fma_f64 v[34:35], v[94:95], v[34:35], v[144:145]
	v_fma_f64 v[48:49], v[96:97], v[54:55], -v[146:147]
	v_fma_f64 v[86:87], v[100:101], v[50:51], -v[148:149]
	v_fma_f64 v[54:55], v[98:99], v[54:55], v[56:57]
	v_fma_f64 v[50:51], v[102:103], v[50:51], v[52:53]
	v_lshlrev_b32_e32 v176, 4, v176
	v_fma_f64 v[52:53], v[76:77], v[62:63], -v[150:151]
	v_fma_f64 v[56:57], v[80:81], v[58:59], -v[154:155]
	v_fma_f64 v[62:63], v[78:79], v[62:63], v[152:153]
	v_fma_f64 v[58:59], v[82:83], v[58:59], v[60:61]
	buffer_gl0_inv
	v_fma_f64 v[60:61], v[120:121], v[42:43], -v[156:157]
	v_fma_f64 v[76:77], v[88:89], v[38:39], -v[160:161]
	v_fma_f64 v[42:43], v[122:123], v[42:43], v[158:159]
	v_fma_f64 v[38:39], v[90:91], v[38:39], v[162:163]
	v_fma_f64 v[78:79], v[108:109], v[72:73], -v[164:165]
	v_fma_f64 v[80:81], v[112:113], v[68:69], -v[168:169]
	v_fma_f64 v[72:73], v[110:111], v[72:73], v[166:167]
	v_fma_f64 v[68:69], v[114:115], v[68:69], v[170:171]
	v_add_f64 v[82:83], v[20:21], v[70:71]
	v_add_f64 v[94:95], v[22:23], v[74:75]
	;; [unrolled: 1-line block ×3, first 2 shown]
	v_add_f64 v[90:91], v[74:75], -v[26:27]
	v_add_f64 v[74:75], v[74:75], v[26:27]
	v_add_f64 v[96:97], v[16:17], v[172:173]
	;; [unrolled: 1-line block ×8, first 2 shown]
	v_add_f64 v[70:71], v[70:71], -v[36:37]
	v_add_f64 v[100:101], v[174:175], -v[40:41]
	;; [unrolled: 1-line block ×3, first 2 shown]
	v_add_f64 v[120:121], v[84:85], v[92:93]
	v_add_f64 v[134:135], v[4:5], v[84:85]
	;; [unrolled: 1-line block ×3, first 2 shown]
	v_add_f64 v[138:139], v[46:47], -v[34:35]
	v_add_f64 v[132:133], v[48:49], v[86:87]
	v_add_f64 v[46:47], v[6:7], v[46:47]
	;; [unrolled: 1-line block ×4, first 2 shown]
	v_add_f64 v[156:157], v[48:49], -v[86:87]
	v_add_f64 v[140:141], v[52:53], v[56:57]
	v_add_f64 v[158:159], v[2:3], v[62:63]
	;; [unrolled: 1-line block ×3, first 2 shown]
	v_add_f64 v[168:169], v[62:63], -v[58:59]
	v_add_f64 v[48:49], v[0:1], v[52:53]
	v_add_f64 v[170:171], v[52:53], -v[56:57]
	v_add_f64 v[118:119], v[28:29], -v[24:25]
	v_add_f64 v[144:145], v[60:61], v[76:77]
	v_add_f64 v[162:163], v[66:67], v[42:43]
	;; [unrolled: 1-line block ×5, first 2 shown]
	v_add_f64 v[104:105], v[104:105], -v[116:117]
	v_add_f64 v[154:155], v[72:73], v[68:69]
	v_add_f64 v[150:151], v[54:55], -v[50:51]
	v_add_f64 v[54:55], v[10:11], v[54:55]
	v_fma_f64 v[88:89], v[88:89], -0.5, v[20:21]
	v_add_f64 v[160:161], v[64:65], v[60:61]
	v_fma_f64 v[62:63], v[74:75], -0.5, v[22:23]
	;; [unrolled: 2-line block ×3, first 2 shown]
	v_fma_f64 v[74:75], v[106:107], -0.5, v[18:19]
	v_add_f64 v[106:107], v[60:61], -v[76:77]
	v_fma_f64 v[60:61], v[110:111], -0.5, v[12:13]
	v_add_f64 v[110:111], v[72:73], -v[68:69]
	;; [unrolled: 2-line block ×3, first 2 shown]
	v_add_f64 v[164:165], v[30:31], v[78:79]
	v_add_f64 v[114:115], v[78:79], -v[80:81]
	v_fma_f64 v[78:79], v[120:121], -0.5, v[4:5]
	v_add_f64 v[4:5], v[82:83], v[36:37]
	v_fma_f64 v[82:83], v[122:123], -0.5, v[6:7]
	v_add_f64 v[6:7], v[94:95], v[26:27]
	;; [unrolled: 2-line block ×4, first 2 shown]
	v_add_f64 v[98:99], v[42:43], -v[38:39]
	v_fma_f64 v[102:103], v[140:141], -0.5, v[0:1]
	v_add_f64 v[0:1], v[112:113], v[116:117]
	v_fma_f64 v[112:113], v[142:143], -0.5, v[2:3]
	v_add_f64 v[12:13], v[134:135], v[92:93]
	v_add_f64 v[14:15], v[46:47], v[34:35]
	;; [unrolled: 1-line block ×4, first 2 shown]
	v_fma_f64 v[116:117], v[144:145], -0.5, v[64:65]
	v_add_f64 v[26:27], v[162:163], v[38:39]
	v_fma_f64 v[92:93], v[148:149], -0.5, v[66:67]
	v_add_f64 v[2:3], v[28:29], v[24:25]
	;; [unrolled: 2-line block ×4, first 2 shown]
	v_fma_f64 v[32:33], v[90:91], s[0:1], v[88:89]
	v_fma_f64 v[36:37], v[90:91], s[4:5], v[88:89]
	;; [unrolled: 1-line block ×12, first 2 shown]
	v_add_f64 v[30:31], v[166:167], v[68:69]
	v_fma_f64 v[56:57], v[138:139], s[0:1], v[78:79]
	v_fma_f64 v[60:61], v[138:139], s[4:5], v[78:79]
	;; [unrolled: 1-line block ×8, first 2 shown]
	v_add_f64 v[24:25], v[160:161], v[76:77]
	v_fma_f64 v[72:73], v[168:169], s[0:1], v[102:103]
	v_fma_f64 v[76:77], v[168:169], s[4:5], v[102:103]
	;; [unrolled: 1-line block ×4, first 2 shown]
	v_add_f64 v[28:29], v[164:165], v[80:81]
	v_lshlrev_b32_e32 v96, 4, v130
	v_lshlrev_b32_e32 v97, 4, v179
	v_fma_f64 v[80:81], v[98:99], s[0:1], v[116:117]
	v_fma_f64 v[84:85], v[98:99], s[4:5], v[116:117]
	;; [unrolled: 1-line block ×8, first 2 shown]
	v_lshlrev_b32_e32 v98, 4, v180
	v_lshlrev_b32_e32 v99, 4, v181
	;; [unrolled: 1-line block ×3, first 2 shown]
	v_add3_u32 v101, 0, v177, v178
	v_add3_u32 v96, 0, v96, v178
	;; [unrolled: 1-line block ×6, first 2 shown]
	ds_store_b128 v127, v[4:7]
	ds_store_b128 v127, v[32:35] offset:272
	ds_store_b128 v127, v[36:39] offset:544
	;; [unrolled: 1-line block ×23, first 2 shown]
	s_waitcnt lgkmcnt(0)
	s_barrier
	buffer_gl0_inv
	s_clause 0x9
	global_load_b128 v[0:3], v176, s[8:9] offset:544
	global_load_b128 v[4:7], v176, s[8:9] offset:560
	;; [unrolled: 1-line block ×10, first 2 shown]
	v_add_co_u32 v48, s0, s8, v176
	s_delay_alu instid0(VALU_DEP_1) | instskip(SKIP_4) | instid1(VALU_DEP_1)
	v_add_co_ci_u32_e64 v49, null, s9, 0, s0
	s_clause 0x1
	global_load_b128 v[40:43], v176, s[8:9] offset:2496
	global_load_b128 v[44:47], v176, s[8:9] offset:2512
	v_add_co_u32 v80, s0, 0x770, v48
	v_add_co_ci_u32_e64 v81, s0, 0, v49, s0
	s_clause 0x8
	global_load_b128 v[48:51], v176, s[8:9] offset:2528
	global_load_b128 v[52:55], v176, s[8:9] offset:2544
	global_load_b128 v[56:59], v[80:81], off offset:2448
	global_load_b128 v[60:63], v[80:81], off offset:2464
	;; [unrolled: 1-line block ×7, first 2 shown]
	ds_load_b128 v[84:87], v127 offset:816
	ds_load_b128 v[88:91], v127 offset:2448
	;; [unrolled: 1-line block ×22, first 2 shown]
	s_mov_b32 s0, 0x667f3bcd
	s_mov_b32 s1, 0xbfe6a09e
	;; [unrolled: 1-line block ×4, first 2 shown]
	s_waitcnt vmcnt(20) lgkmcnt(21)
	v_mul_f64 v[176:177], v[86:87], v[2:3]
	v_mul_f64 v[2:3], v[84:85], v[2:3]
	s_waitcnt vmcnt(19) lgkmcnt(17)
	v_mul_f64 v[182:183], v[102:103], v[6:7]
	v_mul_f64 v[6:7], v[100:101], v[6:7]
	s_waitcnt vmcnt(18)
	v_mul_f64 v[184:185], v[90:91], v[10:11]
	v_mul_f64 v[10:11], v[88:89], v[10:11]
	s_waitcnt vmcnt(17) lgkmcnt(15)
	v_mul_f64 v[186:187], v[110:111], v[14:15]
	v_mul_f64 v[14:15], v[108:109], v[14:15]
	s_waitcnt vmcnt(16)
	;; [unrolled: 6-line block ×3, first 2 shown]
	v_mul_f64 v[192:193], v[98:99], v[34:35]
	v_mul_f64 v[34:35], v[96:97], v[34:35]
	s_waitcnt vmcnt(11) lgkmcnt(10)
	v_mul_f64 v[194:195], v[138:139], v[38:39]
	v_mul_f64 v[38:39], v[136:137], v[38:39]
	;; [unrolled: 1-line block ×4, first 2 shown]
	s_waitcnt lgkmcnt(7)
	v_mul_f64 v[198:199], v[150:151], v[26:27]
	v_mul_f64 v[26:27], v[148:149], v[26:27]
	s_waitcnt vmcnt(10)
	v_mul_f64 v[200:201], v[114:115], v[42:43]
	v_mul_f64 v[42:43], v[112:113], v[42:43]
	s_waitcnt vmcnt(9) lgkmcnt(4)
	v_mul_f64 v[202:203], v[162:163], v[46:47]
	v_mul_f64 v[46:47], v[160:161], v[46:47]
	s_waitcnt vmcnt(8)
	v_mul_f64 v[204:205], v[122:123], v[50:51]
	v_mul_f64 v[50:51], v[120:121], v[50:51]
	s_waitcnt vmcnt(7) lgkmcnt(1)
	v_mul_f64 v[206:207], v[174:175], v[54:55]
	v_mul_f64 v[54:55], v[172:173], v[54:55]
	s_waitcnt vmcnt(6)
	v_mul_f64 v[208:209], v[142:143], v[58:59]
	v_mul_f64 v[58:59], v[140:141], v[58:59]
	s_waitcnt vmcnt(5)
	;; [unrolled: 3-line block ×5, first 2 shown]
	v_mul_f64 v[216:217], v[166:167], v[74:75]
	v_mul_f64 v[74:75], v[164:165], v[74:75]
	v_fma_f64 v[84:85], v[84:85], v[0:1], -v[176:177]
	s_waitcnt vmcnt(1)
	v_mul_f64 v[176:177], v[170:171], v[78:79]
	v_mul_f64 v[78:79], v[168:169], v[78:79]
	s_waitcnt vmcnt(0) lgkmcnt(0)
	v_mul_f64 v[218:219], v[180:181], v[82:83]
	v_mul_f64 v[82:83], v[178:179], v[82:83]
	v_fma_f64 v[86:87], v[86:87], v[0:1], v[2:3]
	v_fma_f64 v[100:101], v[100:101], v[4:5], -v[182:183]
	v_fma_f64 v[102:103], v[102:103], v[4:5], v[6:7]
	v_fma_f64 v[88:89], v[88:89], v[8:9], -v[184:185]
	;; [unrolled: 2-line block ×16, first 2 shown]
	v_fma_f64 v[68:69], v[158:159], v[68:69], v[70:71]
	ds_load_b128 v[0:3], v255
	ds_load_b128 v[4:7], v127 offset:272
	v_fma_f64 v[70:71], v[168:169], v[76:77], -v[176:177]
	v_fma_f64 v[76:77], v[170:171], v[76:77], v[78:79]
	v_fma_f64 v[78:79], v[164:165], v[72:73], -v[216:217]
	v_fma_f64 v[72:73], v[166:167], v[72:73], v[74:75]
	;; [unrolled: 2-line block ×4, first 2 shown]
	s_waitcnt lgkmcnt(0)
	s_barrier
	buffer_gl0_inv
	v_add_f64 v[14:15], v[84:85], -v[14:15]
	v_add_f64 v[16:17], v[86:87], -v[16:17]
	;; [unrolled: 1-line block ×24, first 2 shown]
	v_fma_f64 v[84:85], v[84:85], 2.0, -v[14:15]
	v_fma_f64 v[86:87], v[86:87], 2.0, -v[16:17]
	;; [unrolled: 1-line block ×8, first 2 shown]
	v_add_f64 v[92:93], v[10:11], -v[20:21]
	v_add_f64 v[94:95], v[12:13], v[18:19]
	v_add_f64 v[18:19], v[14:15], -v[32:33]
	v_add_f64 v[20:21], v[16:17], v[22:23]
	v_fma_f64 v[4:5], v[4:5], 2.0, -v[26:27]
	v_fma_f64 v[6:7], v[6:7], 2.0, -v[40:41]
	;; [unrolled: 1-line block ×8, first 2 shown]
	v_add_f64 v[96:97], v[26:27], -v[48:49]
	v_add_f64 v[98:99], v[40:41], v[42:43]
	v_add_f64 v[36:37], v[50:51], -v[52:53]
	v_add_f64 v[38:39], v[44:45], v[46:47]
	v_fma_f64 v[42:43], v[132:133], 2.0, -v[62:63]
	v_fma_f64 v[46:47], v[134:135], 2.0, -v[68:69]
	v_fma_f64 v[48:49], v[58:59], 2.0, -v[70:71]
	v_fma_f64 v[52:53], v[60:61], 2.0, -v[76:77]
	v_fma_f64 v[54:55], v[54:55], 2.0, -v[78:79]
	v_fma_f64 v[56:57], v[56:57], 2.0, -v[72:73]
	v_add_f64 v[76:77], v[62:63], -v[76:77]
	v_add_f64 v[70:71], v[68:69], v[70:71]
	v_fma_f64 v[58:59], v[74:75], 2.0, -v[66:67]
	v_fma_f64 v[60:61], v[64:65], 2.0, -v[80:81]
	v_add_f64 v[64:65], v[78:79], -v[80:81]
	v_add_f64 v[66:67], v[72:73], v[66:67]
	v_add_f64 v[8:9], v[86:87], -v[8:9]
	v_add_f64 v[74:75], v[0:1], -v[82:83]
	;; [unrolled: 1-line block ×3, first 2 shown]
	v_fma_f64 v[82:83], v[10:11], 2.0, -v[92:93]
	v_add_f64 v[10:11], v[84:85], -v[88:89]
	v_fma_f64 v[90:91], v[12:13], 2.0, -v[94:95]
	v_fma_f64 v[88:89], v[14:15], 2.0, -v[18:19]
	;; [unrolled: 1-line block ×3, first 2 shown]
	v_add_f64 v[102:103], v[4:5], -v[22:23]
	v_add_f64 v[104:105], v[6:7], -v[28:29]
	;; [unrolled: 1-line block ×4, first 2 shown]
	v_fma_f64 v[106:107], v[26:27], 2.0, -v[96:97]
	v_fma_f64 v[108:109], v[40:41], 2.0, -v[98:99]
	;; [unrolled: 1-line block ×4, first 2 shown]
	v_fma_f64 v[24:25], v[18:19], s[4:5], v[92:93]
	v_fma_f64 v[26:27], v[20:21], s[4:5], v[94:95]
	v_add_f64 v[110:111], v[42:43], -v[48:49]
	v_add_f64 v[112:113], v[46:47], -v[52:53]
	v_fma_f64 v[28:29], v[36:37], s[4:5], v[96:97]
	v_fma_f64 v[30:31], v[38:39], s[4:5], v[98:99]
	v_fma_f64 v[114:115], v[62:63], 2.0, -v[76:77]
	v_fma_f64 v[116:117], v[68:69], 2.0, -v[70:71]
	v_add_f64 v[22:23], v[54:55], -v[58:59]
	v_add_f64 v[16:17], v[56:57], -v[60:61]
	v_fma_f64 v[48:49], v[78:79], 2.0, -v[64:65]
	v_fma_f64 v[50:51], v[72:73], 2.0, -v[66:67]
	v_fma_f64 v[52:53], v[64:65], s[4:5], v[76:77]
	v_fma_f64 v[58:59], v[66:67], s[4:5], v[70:71]
	v_fma_f64 v[62:63], v[86:87], 2.0, -v[8:9]
	v_fma_f64 v[72:73], v[0:1], 2.0, -v[74:75]
	;; [unrolled: 1-line block ×3, first 2 shown]
	v_add_f64 v[0:1], v[74:75], -v[8:9]
	v_fma_f64 v[60:61], v[84:85], 2.0, -v[10:11]
	v_add_f64 v[2:3], v[80:81], v[10:11]
	v_fma_f64 v[68:69], v[88:89], s[0:1], v[82:83]
	v_fma_f64 v[84:85], v[100:101], s[0:1], v[90:91]
	v_fma_f64 v[86:87], v[4:5], 2.0, -v[102:103]
	v_fma_f64 v[118:119], v[6:7], 2.0, -v[104:105]
	;; [unrolled: 1-line block ×4, first 2 shown]
	v_add_f64 v[8:9], v[102:103], -v[14:15]
	v_add_f64 v[10:11], v[104:105], v[12:13]
	v_fma_f64 v[120:121], v[40:41], s[0:1], v[106:107]
	v_fma_f64 v[122:123], v[44:45], s[0:1], v[108:109]
	;; [unrolled: 1-line block ×4, first 2 shown]
	v_fma_f64 v[132:133], v[42:43], 2.0, -v[110:111]
	v_fma_f64 v[134:135], v[46:47], 2.0, -v[112:113]
	v_fma_f64 v[12:13], v[38:39], s[0:1], v[28:29]
	v_fma_f64 v[14:15], v[36:37], s[4:5], v[30:31]
	v_fma_f64 v[42:43], v[54:55], 2.0, -v[22:23]
	v_fma_f64 v[46:47], v[56:57], 2.0, -v[16:17]
	v_fma_f64 v[54:55], v[48:49], s[0:1], v[114:115]
	v_fma_f64 v[56:57], v[50:51], s[0:1], v[116:117]
	v_add_f64 v[16:17], v[110:111], -v[16:17]
	v_add_f64 v[18:19], v[112:113], v[22:23]
	v_fma_f64 v[20:21], v[66:67], s[0:1], v[52:53]
	v_fma_f64 v[22:23], v[64:65], s[4:5], v[58:59]
	v_add_f64 v[26:27], v[78:79], -v[62:63]
	v_add_f64 v[24:25], v[72:73], -v[60:61]
	v_fma_f64 v[28:29], v[100:101], s[0:1], v[68:69]
	v_fma_f64 v[30:31], v[88:89], s[4:5], v[84:85]
	v_add_f64 v[32:33], v[86:87], -v[32:33]
	v_add_f64 v[34:35], v[118:119], -v[34:35]
	v_fma_f64 v[58:59], v[104:105], 2.0, -v[10:11]
	v_fma_f64 v[36:37], v[44:45], s[0:1], v[120:121]
	v_fma_f64 v[38:39], v[40:41], s[4:5], v[122:123]
	v_fma_f64 v[52:53], v[92:93], 2.0, -v[4:5]
	v_fma_f64 v[60:61], v[96:97], 2.0, -v[12:13]
	;; [unrolled: 1-line block ×3, first 2 shown]
	v_add_f64 v[40:41], v[132:133], -v[42:43]
	v_add_f64 v[42:43], v[134:135], -v[46:47]
	v_fma_f64 v[44:45], v[50:51], s[0:1], v[54:55]
	v_fma_f64 v[46:47], v[48:49], s[4:5], v[56:57]
	v_fma_f64 v[48:49], v[74:75], 2.0, -v[0:1]
	v_fma_f64 v[50:51], v[80:81], 2.0, -v[2:3]
	;; [unrolled: 1-line block ×20, first 2 shown]
	ds_store_b128 v127, v[0:3] offset:4896
	ds_store_b128 v127, v[8:11] offset:5168
	;; [unrolled: 1-line block ×18, first 2 shown]
	ds_store_b128 v127, v[72:75]
	ds_store_b128 v127, v[80:83] offset:272
	ds_store_b128 v127, v[76:79] offset:816
	;; [unrolled: 1-line block ×5, first 2 shown]
	s_waitcnt lgkmcnt(0)
	s_barrier
	buffer_gl0_inv
	s_and_saveexec_b32 s0, vcc_lo
	s_cbranch_execz .LBB0_22
; %bb.21:
	v_mul_lo_u32 v2, s3, v128
	v_mul_lo_u32 v3, s2, v129
	v_mad_u64_u32 v[0:1], null, s2, v128, 0
	v_lshl_add_u32 v34, v126, 4, v232
	v_dual_mov_b32 v127, v131 :: v_dual_add_nc_u32 v130, 17, v126
	v_lshlrev_b64 v[8:9], 4, v[124:125]
	s_delay_alu instid0(VALU_DEP_4) | instskip(NEXT) | instid1(VALU_DEP_3)
	v_add3_u32 v1, v1, v3, v2
	v_lshlrev_b64 v[12:13], 4, v[126:127]
	s_delay_alu instid0(VALU_DEP_2)
	v_lshlrev_b64 v[10:11], 4, v[0:1]
	ds_load_b128 v[0:3], v34
	ds_load_b128 v[4:7], v34 offset:272
	v_add_co_u32 v14, vcc_lo, s6, v10
	v_add_co_ci_u32_e32 v15, vcc_lo, s7, v11, vcc_lo
	v_lshlrev_b64 v[10:11], 4, v[130:131]
	s_delay_alu instid0(VALU_DEP_3) | instskip(NEXT) | instid1(VALU_DEP_3)
	v_add_co_u32 v36, vcc_lo, v14, v8
	v_add_co_ci_u32_e32 v37, vcc_lo, v15, v9, vcc_lo
	v_add_nc_u32_e32 v130, 34, v126
	s_delay_alu instid0(VALU_DEP_3) | instskip(NEXT) | instid1(VALU_DEP_3)
	v_add_co_u32 v8, vcc_lo, v36, v12
	v_add_co_ci_u32_e32 v9, vcc_lo, v37, v13, vcc_lo
	s_delay_alu instid0(VALU_DEP_3) | instskip(SKIP_3) | instid1(VALU_DEP_4)
	v_lshlrev_b64 v[12:13], 4, v[130:131]
	v_add_co_u32 v10, vcc_lo, v36, v10
	v_add_co_ci_u32_e32 v11, vcc_lo, v37, v11, vcc_lo
	v_add_nc_u32_e32 v130, 51, v126
	v_add_co_u32 v18, vcc_lo, v36, v12
	s_waitcnt lgkmcnt(1)
	global_store_b128 v[8:9], v[0:3], off
	s_waitcnt lgkmcnt(0)
	global_store_b128 v[10:11], v[4:7], off
	v_add_co_ci_u32_e32 v19, vcc_lo, v37, v13, vcc_lo
	v_lshlrev_b64 v[16:17], 4, v[130:131]
	v_add_nc_u32_e32 v130, 0x44, v126
	ds_load_b128 v[0:3], v34 offset:544
	ds_load_b128 v[4:7], v34 offset:816
	;; [unrolled: 1-line block ×4, first 2 shown]
	v_lshlrev_b64 v[20:21], 4, v[130:131]
	v_add_nc_u32_e32 v130, 0x55, v126
	v_add_co_u32 v16, vcc_lo, v36, v16
	v_add_co_ci_u32_e32 v17, vcc_lo, v37, v17, vcc_lo
	s_delay_alu instid0(VALU_DEP_3) | instskip(SKIP_3) | instid1(VALU_DEP_4)
	v_lshlrev_b64 v[22:23], 4, v[130:131]
	v_add_nc_u32_e32 v130, 0x66, v126
	v_add_co_u32 v20, vcc_lo, v36, v20
	v_add_co_ci_u32_e32 v21, vcc_lo, v37, v21, vcc_lo
	v_add_co_u32 v22, vcc_lo, v36, v22
	s_delay_alu instid0(VALU_DEP_4)
	v_lshlrev_b64 v[24:25], 4, v[130:131]
	v_add_nc_u32_e32 v130, 0x77, v126
	v_add_co_ci_u32_e32 v23, vcc_lo, v37, v23, vcc_lo
	s_waitcnt lgkmcnt(3)
	global_store_b128 v[18:19], v[0:3], off
	s_waitcnt lgkmcnt(2)
	global_store_b128 v[16:17], v[4:7], off
	s_waitcnt lgkmcnt(1)
	global_store_b128 v[20:21], v[8:11], off
	s_waitcnt lgkmcnt(0)
	global_store_b128 v[22:23], v[12:15], off
	ds_load_b128 v[0:3], v34 offset:1632
	ds_load_b128 v[4:7], v34 offset:1904
	v_lshlrev_b64 v[16:17], 4, v[130:131]
	v_add_nc_u32_e32 v130, 0x88, v126
	ds_load_b128 v[8:11], v34 offset:2176
	ds_load_b128 v[12:15], v34 offset:2448
	v_add_co_u32 v18, vcc_lo, v36, v24
	v_add_co_ci_u32_e32 v19, vcc_lo, v37, v25, vcc_lo
	v_lshlrev_b64 v[20:21], 4, v[130:131]
	v_add_nc_u32_e32 v130, 0x99, v126
	v_add_co_u32 v16, vcc_lo, v36, v16
	v_add_co_ci_u32_e32 v17, vcc_lo, v37, v17, vcc_lo
	s_delay_alu instid0(VALU_DEP_3) | instskip(SKIP_3) | instid1(VALU_DEP_4)
	v_lshlrev_b64 v[22:23], 4, v[130:131]
	v_add_nc_u32_e32 v130, 0xaa, v126
	v_add_co_u32 v20, vcc_lo, v36, v20
	v_add_co_ci_u32_e32 v21, vcc_lo, v37, v21, vcc_lo
	v_add_co_u32 v22, vcc_lo, v36, v22
	s_delay_alu instid0(VALU_DEP_4)
	v_lshlrev_b64 v[24:25], 4, v[130:131]
	v_add_nc_u32_e32 v130, 0xbb, v126
	v_add_co_ci_u32_e32 v23, vcc_lo, v37, v23, vcc_lo
	s_waitcnt lgkmcnt(3)
	global_store_b128 v[18:19], v[0:3], off
	s_waitcnt lgkmcnt(2)
	global_store_b128 v[16:17], v[4:7], off
	s_waitcnt lgkmcnt(1)
	global_store_b128 v[20:21], v[8:11], off
	s_waitcnt lgkmcnt(0)
	global_store_b128 v[22:23], v[12:15], off
	ds_load_b128 v[0:3], v34 offset:2720
	ds_load_b128 v[4:7], v34 offset:2992
	v_lshlrev_b64 v[16:17], 4, v[130:131]
	v_add_nc_u32_e32 v130, 0xcc, v126
	ds_load_b128 v[8:11], v34 offset:3264
	ds_load_b128 v[12:15], v34 offset:3536
	v_add_co_u32 v18, vcc_lo, v36, v24
	v_add_co_ci_u32_e32 v19, vcc_lo, v37, v25, vcc_lo
	;; [unrolled: 30-line block ×3, first 2 shown]
	v_lshlrev_b64 v[20:21], 4, v[130:131]
	v_add_nc_u32_e32 v130, 0x121, v126
	v_add_co_u32 v16, vcc_lo, v36, v16
	v_add_co_ci_u32_e32 v17, vcc_lo, v37, v17, vcc_lo
	s_delay_alu instid0(VALU_DEP_3) | instskip(SKIP_3) | instid1(VALU_DEP_3)
	v_lshlrev_b64 v[22:23], 4, v[130:131]
	v_add_nc_u32_e32 v130, 0x132, v126
	v_add_co_u32 v20, vcc_lo, v36, v20
	v_add_co_ci_u32_e32 v21, vcc_lo, v37, v21, vcc_lo
	v_lshlrev_b64 v[24:25], 4, v[130:131]
	v_add_nc_u32_e32 v130, 0x143, v126
	v_add_co_u32 v22, vcc_lo, v36, v22
	v_add_co_ci_u32_e32 v23, vcc_lo, v37, v23, vcc_lo
	s_waitcnt lgkmcnt(3)
	global_store_b128 v[18:19], v[0:3], off
	s_waitcnt lgkmcnt(2)
	global_store_b128 v[16:17], v[4:7], off
	;; [unrolled: 2-line block ×4, first 2 shown]
	v_lshlrev_b64 v[8:9], 4, v[130:131]
	v_add_nc_u32_e32 v130, 0x154, v126
	v_add_co_u32 v24, vcc_lo, v36, v24
	v_add_co_ci_u32_e32 v25, vcc_lo, v37, v25, vcc_lo
	s_delay_alu instid0(VALU_DEP_3) | instskip(SKIP_3) | instid1(VALU_DEP_4)
	v_lshlrev_b64 v[10:11], 4, v[130:131]
	v_add_co_u32 v26, vcc_lo, v36, v8
	v_add_nc_u32_e32 v130, 0x165, v126
	v_add_co_ci_u32_e32 v27, vcc_lo, v37, v9, vcc_lo
	v_add_co_u32 v30, vcc_lo, v36, v10
	ds_load_b128 v[0:3], v34 offset:4896
	ds_load_b128 v[4:7], v34 offset:5168
	v_add_co_ci_u32_e32 v31, vcc_lo, v37, v11, vcc_lo
	ds_load_b128 v[8:11], v34 offset:5440
	ds_load_b128 v[12:15], v34 offset:5712
	;; [unrolled: 1-line block ×4, first 2 shown]
	v_lshlrev_b64 v[28:29], 4, v[130:131]
	v_add_nc_u32_e32 v130, 0x176, v126
	s_delay_alu instid0(VALU_DEP_1) | instskip(SKIP_1) | instid1(VALU_DEP_4)
	v_lshlrev_b64 v[32:33], 4, v[130:131]
	v_add_nc_u32_e32 v130, 0x187, v126
	v_add_co_u32 v28, vcc_lo, v36, v28
	v_add_co_ci_u32_e32 v29, vcc_lo, v37, v29, vcc_lo
	s_delay_alu instid0(VALU_DEP_3) | instskip(SKIP_2) | instid1(VALU_DEP_3)
	v_lshlrev_b64 v[34:35], 4, v[130:131]
	v_add_co_u32 v32, vcc_lo, v36, v32
	v_add_co_ci_u32_e32 v33, vcc_lo, v37, v33, vcc_lo
	v_add_co_u32 v34, vcc_lo, v36, v34
	s_delay_alu instid0(VALU_DEP_4)
	v_add_co_ci_u32_e32 v35, vcc_lo, v37, v35, vcc_lo
	s_waitcnt lgkmcnt(5)
	global_store_b128 v[24:25], v[0:3], off
	s_waitcnt lgkmcnt(4)
	global_store_b128 v[26:27], v[4:7], off
	;; [unrolled: 2-line block ×6, first 2 shown]
.LBB0_22:
	s_nop 0
	s_sendmsg sendmsg(MSG_DEALLOC_VGPRS)
	s_endpgm
	.section	.rodata,"a",@progbits
	.p2align	6, 0x0
	.amdhsa_kernel fft_rtc_fwd_len408_factors_17_3_8_wgs_51_tpt_17_halfLds_dp_op_CI_CI_unitstride_sbrr_C2R_dirReg
		.amdhsa_group_segment_fixed_size 0
		.amdhsa_private_segment_fixed_size 92
		.amdhsa_kernarg_size 104
		.amdhsa_user_sgpr_count 15
		.amdhsa_user_sgpr_dispatch_ptr 0
		.amdhsa_user_sgpr_queue_ptr 0
		.amdhsa_user_sgpr_kernarg_segment_ptr 1
		.amdhsa_user_sgpr_dispatch_id 0
		.amdhsa_user_sgpr_private_segment_size 0
		.amdhsa_wavefront_size32 1
		.amdhsa_uses_dynamic_stack 0
		.amdhsa_enable_private_segment 1
		.amdhsa_system_sgpr_workgroup_id_x 1
		.amdhsa_system_sgpr_workgroup_id_y 0
		.amdhsa_system_sgpr_workgroup_id_z 0
		.amdhsa_system_sgpr_workgroup_info 0
		.amdhsa_system_vgpr_workitem_id 0
		.amdhsa_next_free_vgpr 256
		.amdhsa_next_free_sgpr 58
		.amdhsa_reserve_vcc 1
		.amdhsa_float_round_mode_32 0
		.amdhsa_float_round_mode_16_64 0
		.amdhsa_float_denorm_mode_32 3
		.amdhsa_float_denorm_mode_16_64 3
		.amdhsa_dx10_clamp 1
		.amdhsa_ieee_mode 1
		.amdhsa_fp16_overflow 0
		.amdhsa_workgroup_processor_mode 1
		.amdhsa_memory_ordered 1
		.amdhsa_forward_progress 0
		.amdhsa_shared_vgpr_count 0
		.amdhsa_exception_fp_ieee_invalid_op 0
		.amdhsa_exception_fp_denorm_src 0
		.amdhsa_exception_fp_ieee_div_zero 0
		.amdhsa_exception_fp_ieee_overflow 0
		.amdhsa_exception_fp_ieee_underflow 0
		.amdhsa_exception_fp_ieee_inexact 0
		.amdhsa_exception_int_div_zero 0
	.end_amdhsa_kernel
	.text
.Lfunc_end0:
	.size	fft_rtc_fwd_len408_factors_17_3_8_wgs_51_tpt_17_halfLds_dp_op_CI_CI_unitstride_sbrr_C2R_dirReg, .Lfunc_end0-fft_rtc_fwd_len408_factors_17_3_8_wgs_51_tpt_17_halfLds_dp_op_CI_CI_unitstride_sbrr_C2R_dirReg
                                        ; -- End function
	.section	.AMDGPU.csdata,"",@progbits
; Kernel info:
; codeLenInByte = 24380
; NumSgprs: 60
; NumVgprs: 256
; ScratchSize: 92
; MemoryBound: 0
; FloatMode: 240
; IeeeMode: 1
; LDSByteSize: 0 bytes/workgroup (compile time only)
; SGPRBlocks: 7
; VGPRBlocks: 31
; NumSGPRsForWavesPerEU: 60
; NumVGPRsForWavesPerEU: 256
; Occupancy: 5
; WaveLimiterHint : 1
; COMPUTE_PGM_RSRC2:SCRATCH_EN: 1
; COMPUTE_PGM_RSRC2:USER_SGPR: 15
; COMPUTE_PGM_RSRC2:TRAP_HANDLER: 0
; COMPUTE_PGM_RSRC2:TGID_X_EN: 1
; COMPUTE_PGM_RSRC2:TGID_Y_EN: 0
; COMPUTE_PGM_RSRC2:TGID_Z_EN: 0
; COMPUTE_PGM_RSRC2:TIDIG_COMP_CNT: 0
	.text
	.p2alignl 7, 3214868480
	.fill 96, 4, 3214868480
	.type	__hip_cuid_4d6e2623e337ab28,@object ; @__hip_cuid_4d6e2623e337ab28
	.section	.bss,"aw",@nobits
	.globl	__hip_cuid_4d6e2623e337ab28
__hip_cuid_4d6e2623e337ab28:
	.byte	0                               ; 0x0
	.size	__hip_cuid_4d6e2623e337ab28, 1

	.ident	"AMD clang version 19.0.0git (https://github.com/RadeonOpenCompute/llvm-project roc-6.4.0 25133 c7fe45cf4b819c5991fe208aaa96edf142730f1d)"
	.section	".note.GNU-stack","",@progbits
	.addrsig
	.addrsig_sym __hip_cuid_4d6e2623e337ab28
	.amdgpu_metadata
---
amdhsa.kernels:
  - .args:
      - .actual_access:  read_only
        .address_space:  global
        .offset:         0
        .size:           8
        .value_kind:     global_buffer
      - .offset:         8
        .size:           8
        .value_kind:     by_value
      - .actual_access:  read_only
        .address_space:  global
        .offset:         16
        .size:           8
        .value_kind:     global_buffer
      - .actual_access:  read_only
        .address_space:  global
        .offset:         24
        .size:           8
        .value_kind:     global_buffer
      - .actual_access:  read_only
        .address_space:  global
        .offset:         32
        .size:           8
        .value_kind:     global_buffer
      - .offset:         40
        .size:           8
        .value_kind:     by_value
      - .actual_access:  read_only
        .address_space:  global
        .offset:         48
        .size:           8
        .value_kind:     global_buffer
      - .actual_access:  read_only
        .address_space:  global
        .offset:         56
        .size:           8
        .value_kind:     global_buffer
      - .offset:         64
        .size:           4
        .value_kind:     by_value
      - .actual_access:  read_only
        .address_space:  global
        .offset:         72
        .size:           8
        .value_kind:     global_buffer
      - .actual_access:  read_only
        .address_space:  global
        .offset:         80
        .size:           8
        .value_kind:     global_buffer
      - .actual_access:  read_only
        .address_space:  global
        .offset:         88
        .size:           8
        .value_kind:     global_buffer
      - .actual_access:  write_only
        .address_space:  global
        .offset:         96
        .size:           8
        .value_kind:     global_buffer
    .group_segment_fixed_size: 0
    .kernarg_segment_align: 8
    .kernarg_segment_size: 104
    .language:       OpenCL C
    .language_version:
      - 2
      - 0
    .max_flat_workgroup_size: 51
    .name:           fft_rtc_fwd_len408_factors_17_3_8_wgs_51_tpt_17_halfLds_dp_op_CI_CI_unitstride_sbrr_C2R_dirReg
    .private_segment_fixed_size: 92
    .sgpr_count:     60
    .sgpr_spill_count: 0
    .symbol:         fft_rtc_fwd_len408_factors_17_3_8_wgs_51_tpt_17_halfLds_dp_op_CI_CI_unitstride_sbrr_C2R_dirReg.kd
    .uniform_work_group_size: 1
    .uses_dynamic_stack: false
    .vgpr_count:     256
    .vgpr_spill_count: 22
    .wavefront_size: 32
    .workgroup_processor_mode: 1
amdhsa.target:   amdgcn-amd-amdhsa--gfx1100
amdhsa.version:
  - 1
  - 2
...

	.end_amdgpu_metadata
